;; amdgpu-corpus repo=ROCm/rocFFT kind=compiled arch=gfx1030 opt=O3
	.text
	.amdgcn_target "amdgcn-amd-amdhsa--gfx1030"
	.amdhsa_code_object_version 6
	.protected	fft_rtc_back_len2023_factors_17_7_17_wgs_119_tpt_119_halfLds_half_op_CI_CI_unitstride_sbrr_dirReg ; -- Begin function fft_rtc_back_len2023_factors_17_7_17_wgs_119_tpt_119_halfLds_half_op_CI_CI_unitstride_sbrr_dirReg
	.globl	fft_rtc_back_len2023_factors_17_7_17_wgs_119_tpt_119_halfLds_half_op_CI_CI_unitstride_sbrr_dirReg
	.p2align	8
	.type	fft_rtc_back_len2023_factors_17_7_17_wgs_119_tpt_119_halfLds_half_op_CI_CI_unitstride_sbrr_dirReg,@function
fft_rtc_back_len2023_factors_17_7_17_wgs_119_tpt_119_halfLds_half_op_CI_CI_unitstride_sbrr_dirReg: ; @fft_rtc_back_len2023_factors_17_7_17_wgs_119_tpt_119_halfLds_half_op_CI_CI_unitstride_sbrr_dirReg
; %bb.0:
	s_clause 0x2
	s_load_dwordx4 s[12:15], s[4:5], 0x0
	s_load_dwordx4 s[8:11], s[4:5], 0x58
	;; [unrolled: 1-line block ×3, first 2 shown]
	v_mul_u32_u24_e32 v1, 0x227, v0
	v_mov_b32_e32 v6, 0
	v_add_nc_u32_sdwa v10, s6, v1 dst_sel:DWORD dst_unused:UNUSED_PAD src0_sel:DWORD src1_sel:WORD_1
	v_mov_b32_e32 v1, 0
	v_mov_b32_e32 v11, v6
	v_mov_b32_e32 v2, 0
	s_waitcnt lgkmcnt(0)
	v_cmp_lt_u64_e64 s0, s[14:15], 2
	s_and_b32 vcc_lo, exec_lo, s0
	s_cbranch_vccnz .LBB0_8
; %bb.1:
	s_load_dwordx2 s[0:1], s[4:5], 0x10
	v_mov_b32_e32 v1, 0
	v_mov_b32_e32 v2, 0
	s_add_u32 s2, s18, 8
	s_addc_u32 s3, s19, 0
	s_add_u32 s6, s16, 8
	s_addc_u32 s7, s17, 0
	v_mov_b32_e32 v5, v2
	v_mov_b32_e32 v4, v1
	s_mov_b64 s[22:23], 1
	s_waitcnt lgkmcnt(0)
	s_add_u32 s20, s0, 8
	s_addc_u32 s21, s1, 0
.LBB0_2:                                ; =>This Inner Loop Header: Depth=1
	s_load_dwordx2 s[24:25], s[20:21], 0x0
                                        ; implicit-def: $vgpr8_vgpr9
	s_mov_b32 s0, exec_lo
	s_waitcnt lgkmcnt(0)
	v_or_b32_e32 v7, s25, v11
	v_cmpx_ne_u64_e32 0, v[6:7]
	s_xor_b32 s1, exec_lo, s0
	s_cbranch_execz .LBB0_4
; %bb.3:                                ;   in Loop: Header=BB0_2 Depth=1
	v_cvt_f32_u32_e32 v3, s24
	v_cvt_f32_u32_e32 v7, s25
	s_sub_u32 s0, 0, s24
	s_subb_u32 s26, 0, s25
	v_fmac_f32_e32 v3, 0x4f800000, v7
	v_rcp_f32_e32 v3, v3
	v_mul_f32_e32 v3, 0x5f7ffffc, v3
	v_mul_f32_e32 v7, 0x2f800000, v3
	v_trunc_f32_e32 v7, v7
	v_fmac_f32_e32 v3, 0xcf800000, v7
	v_cvt_u32_f32_e32 v7, v7
	v_cvt_u32_f32_e32 v3, v3
	v_mul_lo_u32 v8, s0, v7
	v_mul_hi_u32 v9, s0, v3
	v_mul_lo_u32 v12, s26, v3
	v_add_nc_u32_e32 v8, v9, v8
	v_mul_lo_u32 v9, s0, v3
	v_add_nc_u32_e32 v8, v8, v12
	v_mul_hi_u32 v12, v3, v9
	v_mul_lo_u32 v13, v3, v8
	v_mul_hi_u32 v14, v3, v8
	v_mul_hi_u32 v15, v7, v9
	v_mul_lo_u32 v9, v7, v9
	v_mul_hi_u32 v16, v7, v8
	v_mul_lo_u32 v8, v7, v8
	v_add_co_u32 v12, vcc_lo, v12, v13
	v_add_co_ci_u32_e32 v13, vcc_lo, 0, v14, vcc_lo
	v_add_co_u32 v9, vcc_lo, v12, v9
	v_add_co_ci_u32_e32 v9, vcc_lo, v13, v15, vcc_lo
	v_add_co_ci_u32_e32 v12, vcc_lo, 0, v16, vcc_lo
	v_add_co_u32 v8, vcc_lo, v9, v8
	v_add_co_ci_u32_e32 v9, vcc_lo, 0, v12, vcc_lo
	v_add_co_u32 v3, vcc_lo, v3, v8
	v_add_co_ci_u32_e32 v7, vcc_lo, v7, v9, vcc_lo
	v_mul_hi_u32 v8, s0, v3
	v_mul_lo_u32 v12, s26, v3
	v_mul_lo_u32 v9, s0, v7
	v_add_nc_u32_e32 v8, v8, v9
	v_mul_lo_u32 v9, s0, v3
	v_add_nc_u32_e32 v8, v8, v12
	v_mul_hi_u32 v12, v3, v9
	v_mul_lo_u32 v13, v3, v8
	v_mul_hi_u32 v14, v3, v8
	v_mul_hi_u32 v15, v7, v9
	v_mul_lo_u32 v9, v7, v9
	v_mul_hi_u32 v16, v7, v8
	v_mul_lo_u32 v8, v7, v8
	v_add_co_u32 v12, vcc_lo, v12, v13
	v_add_co_ci_u32_e32 v13, vcc_lo, 0, v14, vcc_lo
	v_add_co_u32 v9, vcc_lo, v12, v9
	v_add_co_ci_u32_e32 v9, vcc_lo, v13, v15, vcc_lo
	v_add_co_ci_u32_e32 v12, vcc_lo, 0, v16, vcc_lo
	v_add_co_u32 v8, vcc_lo, v9, v8
	v_add_co_ci_u32_e32 v9, vcc_lo, 0, v12, vcc_lo
	v_add_co_u32 v3, vcc_lo, v3, v8
	v_add_co_ci_u32_e32 v9, vcc_lo, v7, v9, vcc_lo
	v_mul_hi_u32 v16, v10, v3
	v_mad_u64_u32 v[12:13], null, v11, v3, 0
	v_mad_u64_u32 v[7:8], null, v10, v9, 0
	;; [unrolled: 1-line block ×3, first 2 shown]
	v_add_co_u32 v3, vcc_lo, v16, v7
	v_add_co_ci_u32_e32 v7, vcc_lo, 0, v8, vcc_lo
	v_add_co_u32 v3, vcc_lo, v3, v12
	v_add_co_ci_u32_e32 v3, vcc_lo, v7, v13, vcc_lo
	v_add_co_ci_u32_e32 v7, vcc_lo, 0, v15, vcc_lo
	v_add_co_u32 v3, vcc_lo, v3, v14
	v_add_co_ci_u32_e32 v9, vcc_lo, 0, v7, vcc_lo
	v_mul_lo_u32 v12, s25, v3
	v_mad_u64_u32 v[7:8], null, s24, v3, 0
	v_mul_lo_u32 v13, s24, v9
	v_sub_co_u32 v7, vcc_lo, v10, v7
	v_add3_u32 v8, v8, v13, v12
	v_sub_nc_u32_e32 v12, v11, v8
	v_subrev_co_ci_u32_e64 v12, s0, s25, v12, vcc_lo
	v_add_co_u32 v13, s0, v3, 2
	v_add_co_ci_u32_e64 v14, s0, 0, v9, s0
	v_sub_co_u32 v15, s0, v7, s24
	v_sub_co_ci_u32_e32 v8, vcc_lo, v11, v8, vcc_lo
	v_subrev_co_ci_u32_e64 v12, s0, 0, v12, s0
	v_cmp_le_u32_e32 vcc_lo, s24, v15
	v_cmp_eq_u32_e64 s0, s25, v8
	v_cndmask_b32_e64 v15, 0, -1, vcc_lo
	v_cmp_le_u32_e32 vcc_lo, s25, v12
	v_cndmask_b32_e64 v16, 0, -1, vcc_lo
	v_cmp_le_u32_e32 vcc_lo, s24, v7
	;; [unrolled: 2-line block ×3, first 2 shown]
	v_cndmask_b32_e64 v17, 0, -1, vcc_lo
	v_cmp_eq_u32_e32 vcc_lo, s25, v12
	v_cndmask_b32_e64 v7, v17, v7, s0
	v_cndmask_b32_e32 v12, v16, v15, vcc_lo
	v_add_co_u32 v15, vcc_lo, v3, 1
	v_add_co_ci_u32_e32 v16, vcc_lo, 0, v9, vcc_lo
	v_cmp_ne_u32_e32 vcc_lo, 0, v12
	v_cndmask_b32_e32 v8, v16, v14, vcc_lo
	v_cndmask_b32_e32 v12, v15, v13, vcc_lo
	v_cmp_ne_u32_e32 vcc_lo, 0, v7
	v_cndmask_b32_e32 v9, v9, v8, vcc_lo
	v_cndmask_b32_e32 v8, v3, v12, vcc_lo
.LBB0_4:                                ;   in Loop: Header=BB0_2 Depth=1
	s_andn2_saveexec_b32 s0, s1
	s_cbranch_execz .LBB0_6
; %bb.5:                                ;   in Loop: Header=BB0_2 Depth=1
	v_cvt_f32_u32_e32 v3, s24
	s_sub_i32 s1, 0, s24
	v_rcp_iflag_f32_e32 v3, v3
	v_mul_f32_e32 v3, 0x4f7ffffe, v3
	v_cvt_u32_f32_e32 v3, v3
	v_mul_lo_u32 v7, s1, v3
	v_mul_hi_u32 v7, v3, v7
	v_add_nc_u32_e32 v3, v3, v7
	v_mul_hi_u32 v3, v10, v3
	v_mul_lo_u32 v7, v3, s24
	v_add_nc_u32_e32 v8, 1, v3
	v_sub_nc_u32_e32 v7, v10, v7
	v_subrev_nc_u32_e32 v9, s24, v7
	v_cmp_le_u32_e32 vcc_lo, s24, v7
	v_cndmask_b32_e32 v7, v7, v9, vcc_lo
	v_cndmask_b32_e32 v3, v3, v8, vcc_lo
	v_mov_b32_e32 v9, v6
	v_cmp_le_u32_e32 vcc_lo, s24, v7
	v_add_nc_u32_e32 v8, 1, v3
	v_cndmask_b32_e32 v8, v3, v8, vcc_lo
.LBB0_6:                                ;   in Loop: Header=BB0_2 Depth=1
	s_or_b32 exec_lo, exec_lo, s0
	v_mul_lo_u32 v3, v9, s24
	v_mul_lo_u32 v7, v8, s25
	s_load_dwordx2 s[0:1], s[6:7], 0x0
	v_mad_u64_u32 v[12:13], null, v8, s24, 0
	s_load_dwordx2 s[24:25], s[2:3], 0x0
	s_add_u32 s22, s22, 1
	s_addc_u32 s23, s23, 0
	s_add_u32 s2, s2, 8
	s_addc_u32 s3, s3, 0
	s_add_u32 s6, s6, 8
	v_add3_u32 v3, v13, v7, v3
	v_sub_co_u32 v7, vcc_lo, v10, v12
	s_addc_u32 s7, s7, 0
	s_add_u32 s20, s20, 8
	v_sub_co_ci_u32_e32 v3, vcc_lo, v11, v3, vcc_lo
	s_addc_u32 s21, s21, 0
	s_waitcnt lgkmcnt(0)
	v_mul_lo_u32 v10, s0, v3
	v_mul_lo_u32 v11, s1, v7
	v_mad_u64_u32 v[1:2], null, s0, v7, v[1:2]
	v_mul_lo_u32 v3, s24, v3
	v_mul_lo_u32 v12, s25, v7
	v_mad_u64_u32 v[4:5], null, s24, v7, v[4:5]
	v_cmp_ge_u64_e64 s0, s[22:23], s[14:15]
	v_add3_u32 v2, v11, v2, v10
	v_add3_u32 v5, v12, v5, v3
	s_and_b32 vcc_lo, exec_lo, s0
	s_cbranch_vccnz .LBB0_9
; %bb.7:                                ;   in Loop: Header=BB0_2 Depth=1
	v_mov_b32_e32 v11, v9
	v_mov_b32_e32 v10, v8
	s_branch .LBB0_2
.LBB0_8:
	v_mov_b32_e32 v5, v2
	v_mov_b32_e32 v8, v10
	;; [unrolled: 1-line block ×4, first 2 shown]
.LBB0_9:
	s_load_dwordx2 s[0:1], s[4:5], 0x28
	v_mul_hi_u32 v11, 0x226b903, v0
	s_lshl_b64 s[4:5], s[14:15], 3
                                        ; implicit-def: $sgpr14
                                        ; implicit-def: $sgpr6_sgpr7
                                        ; implicit-def: $vgpr10
	s_add_u32 s2, s18, s4
	s_addc_u32 s3, s19, s5
	s_waitcnt lgkmcnt(0)
	v_cmp_gt_u64_e32 vcc_lo, s[0:1], v[8:9]
	v_cmp_le_u64_e64 s0, s[0:1], v[8:9]
	s_and_saveexec_b32 s1, s0
	s_xor_b32 s0, exec_lo, s1
; %bb.10:
	v_mul_u32_u24_e32 v1, 0x77, v11
	s_mov_b64 s[6:7], 0
	s_mov_b32 s14, 0
                                        ; implicit-def: $vgpr11
	v_sub_nc_u32_e32 v10, v0, v1
                                        ; implicit-def: $vgpr0
                                        ; implicit-def: $vgpr1_vgpr2
; %bb.11:
	s_or_saveexec_b32 s1, s0
	v_mov_b32_e32 v6, s6
	v_mov_b32_e32 v7, s7
	;; [unrolled: 1-line block ×3, first 2 shown]
                                        ; implicit-def: $vgpr63
                                        ; implicit-def: $vgpr57
                                        ; implicit-def: $vgpr62
                                        ; implicit-def: $vgpr55
                                        ; implicit-def: $vgpr58
                                        ; implicit-def: $vgpr54
                                        ; implicit-def: $vgpr53
                                        ; implicit-def: $vgpr52
                                        ; implicit-def: $vgpr48
                                        ; implicit-def: $vgpr45
                                        ; implicit-def: $vgpr47
                                        ; implicit-def: $vgpr43
                                        ; implicit-def: $vgpr46
                                        ; implicit-def: $vgpr40
                                        ; implicit-def: $vgpr35
                                        ; implicit-def: $vgpr3
                                        ; implicit-def: $vgpr36
                                        ; implicit-def: $vgpr34
                                        ; implicit-def: $vgpr41
                                        ; implicit-def: $vgpr49
                                        ; implicit-def: $vgpr39
                                        ; implicit-def: $vgpr61
                                        ; implicit-def: $vgpr38
                                        ; implicit-def: $vgpr64
                                        ; implicit-def: $vgpr37
                                        ; implicit-def: $vgpr65
                                        ; implicit-def: $vgpr42
                                        ; implicit-def: $vgpr59
                                        ; implicit-def: $vgpr44
                                        ; implicit-def: $vgpr56
                                        ; implicit-def: $vgpr50
                                        ; implicit-def: $vgpr51
	s_xor_b32 exec_lo, exec_lo, s1
	s_cbranch_execz .LBB0_13
; %bb.12:
	s_add_u32 s4, s16, s4
	s_addc_u32 s5, s17, s5
	v_lshlrev_b64 v[1:2], 2, v[1:2]
	s_load_dwordx2 s[4:5], s[4:5], 0x0
	s_waitcnt lgkmcnt(0)
	v_mul_lo_u32 v3, s5, v8
	v_mul_lo_u32 v10, s4, v9
	v_mad_u64_u32 v[6:7], null, s4, v8, 0
	v_add3_u32 v7, v7, v10, v3
	v_mul_u32_u24_e32 v3, 0x77, v11
	v_lshlrev_b64 v[6:7], 2, v[6:7]
	v_sub_nc_u32_e32 v10, v0, v3
	v_add_co_u32 v0, s0, s8, v6
	v_add_co_ci_u32_e64 v3, s0, s9, v7, s0
	v_lshlrev_b32_e32 v6, 2, v10
	v_add_co_u32 v0, s0, v0, v1
	v_add_co_ci_u32_e64 v1, s0, v3, v2, s0
	v_add_co_u32 v0, s0, v0, v6
	v_add_co_ci_u32_e64 v1, s0, 0, v1, s0
	;; [unrolled: 2-line block ×5, first 2 shown]
	s_clause 0x10
	global_load_dword v57, v[0:1], off offset:476
	global_load_dword v55, v[0:1], off offset:952
	;; [unrolled: 1-line block ×16, first 2 shown]
	global_load_dword v13, v[0:1], off
	v_mov_b32_e32 v11, 0
	v_mov_b32_e32 v6, v10
	;; [unrolled: 1-line block ×3, first 2 shown]
	s_waitcnt vmcnt(16)
	v_lshrrev_b32_e32 v63, 16, v57
	s_waitcnt vmcnt(15)
	v_lshrrev_b32_e32 v62, 16, v55
	;; [unrolled: 2-line block ×16, first 2 shown]
.LBB0_13:
	s_or_b32 exec_lo, exec_lo, s1
	v_sub_f16_e32 v0, v63, v37
	v_add_f16_e32 v1, v57, v65
	v_sub_f16_e32 v11, v62, v38
	v_add_f16_e32 v2, v55, v64
	v_sub_f16_e32 v15, v58, v39
	v_pk_mul_f16 v14, 0xb964b5c8, v0 op_sel_hi:[1,0]
	v_add_f16_e32 v12, v54, v61
	v_pk_mul_f16 v21, 0xbbf7b964, v11 op_sel_hi:[1,0]
	v_sub_f16_e32 v20, v53, v42
	v_pk_mul_f16 v24, 0xba62bb29, v15 op_sel_hi:[1,0]
	v_pk_fma_f16 v17, 0x39e93b76, v1, v14 op_sel_hi:[1,0,1]
	v_add_f16_e32 v16, v52, v59
	v_pk_fma_f16 v18, 0x2de839e9, v2, v21 op_sel_hi:[1,0,1]
	v_sub_f16_e32 v23, v48, v44
	v_pk_mul_f16 v26, 0xb1e1bbf7, v20 op_sel_hi:[1,0]
	s_waitcnt vmcnt(0)
	v_pk_add_f16 v17, v17, v13 op_sel_hi:[1,0]
	v_pk_mul_f16 v27, 0xbbf7bb29, v0 op_sel_hi:[1,0]
	v_pk_fma_f16 v19, 0xb8d23722, v12, v24 op_sel_hi:[1,0,1]
	v_add_f16_e32 v22, v45, v56
	v_sub_f16_e32 v28, v47, v41
	v_pk_add_f16 v17, v18, v17
	v_pk_mul_f16 v29, 0xb1e1ba62, v11 op_sel_hi:[1,0]
	v_pk_fma_f16 v18, 0x2de83722, v1, v27 op_sel_hi:[1,0,1]
	v_pk_fma_f16 v30, 0xbbdd2de8, v16, v26 op_sel_hi:[1,0,1]
	v_pk_mul_f16 v31, 0x3836bbb2, v23 op_sel_hi:[1,0]
	v_pk_add_f16 v17, v19, v17
	v_add_f16_e32 v25, v43, v49
	v_pk_mul_f16 v32, 0x3bb231e1, v15 op_sel_hi:[1,0]
	v_pk_fma_f16 v19, 0xbbddb8d2, v2, v29 op_sel_hi:[1,0,1]
	v_pk_add_f16 v18, v18, v13 op_sel_hi:[1,0]
	v_pk_add_f16 v17, v30, v17
	v_pk_mul_f16 v30, 0x3bb2ba62, v28 op_sel_hi:[1,0]
	v_pk_fma_f16 v33, 0xbacdb461, v22, v31 op_sel_hi:[1,0,1]
	v_pk_mul_f16 v66, 0xba62bbb2, v0 op_sel_hi:[1,0]
	v_pk_add_f16 v18, v19, v18
	v_pk_fma_f16 v19, 0xb461bbdd, v12, v32 op_sel_hi:[1,0,1]
	v_pk_fma_f16 v60, 0xb461b8d2, v25, v30 op_sel_hi:[1,0,1]
	v_pk_add_f16 v17, v33, v17
	v_pk_mul_f16 v68, 0x3bb23836, v11 op_sel_hi:[1,0]
	v_pk_mul_f16 v71, 0xbb293964, v23 op_sel_hi:[1,0]
	v_pk_add_f16 v18, v19, v18
	v_pk_fma_f16 v19, 0xb8d2b461, v1, v66 op_sel_hi:[1,0,1]
	v_pk_add_f16 v17, v60, v17
	v_pk_mul_f16 v60, 0x35c83bb2, v20 op_sel_hi:[1,0]
	v_pk_fma_f16 v72, 0xb461bacd, v2, v68 op_sel_hi:[1,0,1]
	v_pk_mul_f16 v73, 0xb5c83964, v15 op_sel_hi:[1,0]
	v_pk_add_f16 v19, v19, v13 op_sel_hi:[1,0]
	v_sub_f16_e32 v33, v46, v50
	v_pk_fma_f16 v70, 0x3b76b461, v16, v60 op_sel_hi:[1,0,1]
	v_pk_mul_f16 v74, 0xb836b5c8, v28 op_sel_hi:[1,0]
	v_pk_mul_f16 v75, 0xb836bb29, v20 op_sel_hi:[1,0]
	v_pk_add_f16 v19, v72, v19
	v_pk_fma_f16 v72, 0x3b7639e9, v12, v73 op_sel_hi:[1,0,1]
	v_pk_add_f16 v18, v70, v18
	v_pk_fma_f16 v70, 0x372239e9, v22, v71 op_sel_hi:[1,0,1]
	v_add_f16_e32 v67, v40, v51
	v_pk_mul_f16 v69, 0x3b29b836, v33 op_sel_hi:[1,0]
	v_pk_mul_f16 v76, 0x3a62bbf7, v33 op_sel_hi:[1,0]
	v_pk_add_f16 v19, v72, v19
	v_pk_add_f16 v18, v70, v18
	v_pk_fma_f16 v70, 0xbacd3b76, v25, v74 op_sel_hi:[1,0,1]
	v_pk_fma_f16 v72, 0xbacd3722, v16, v75 op_sel_hi:[1,0,1]
	v_pk_mul_f16 v77, 0x3bf7b1e1, v23 op_sel_hi:[1,0]
	v_pk_fma_f16 v78, 0x3722bacd, v67, v69 op_sel_hi:[1,0,1]
	v_pk_mul_f16 v79, 0xb9643bf7, v28 op_sel_hi:[1,0]
	v_pk_add_f16 v18, v70, v18
	v_pk_fma_f16 v70, 0xb8d22de8, v67, v76 op_sel_hi:[1,0,1]
	v_pk_add_f16 v19, v72, v19
	v_pk_fma_f16 v72, 0x2de8bbdd, v22, v77 op_sel_hi:[1,0,1]
	v_pk_add_f16 v17, v78, v17
	v_pk_mul_f16 v78, 0xb1e1b5c8, v33 op_sel_hi:[1,0]
	v_pk_add_f16 v18, v70, v18
	v_sub_f16_e32 v70, v35, v36
	v_pk_add_f16 v19, v72, v19
	v_pk_fma_f16 v72, 0x39e92de8, v25, v79 op_sel_hi:[1,0,1]
	v_add_f16_e32 v80, v3, v34
	v_pk_mul_f16 v0, 0xb1e1b836, v0 op_sel_hi:[1,0]
	v_pk_mul_f16 v83, 0x3b29ba62, v70 op_sel_hi:[1,0]
	;; [unrolled: 1-line block ×3, first 2 shown]
	v_pk_add_f16 v19, v72, v19
	v_pk_fma_f16 v72, 0xbbdd3b76, v67, v78 op_sel_hi:[1,0,1]
	v_pk_mul_f16 v82, 0x3964b836, v70 op_sel_hi:[1,0]
	v_pk_mul_f16 v11, 0x35c83b29, v11 op_sel_hi:[1,0]
	v_pk_fma_f16 v84, 0x3b76bbdd, v80, v81 op_sel_hi:[1,0,1]
	v_pk_mul_f16 v15, 0xb836bbf7, v15 op_sel_hi:[1,0]
	v_pk_add_f16 v19, v72, v19
	v_pk_fma_f16 v72, 0x3722b8d2, v80, v83 op_sel_hi:[1,0,1]
	v_pk_fma_f16 v85, 0x39e9bacd, v80, v82 op_sel_hi:[1,0,1]
	v_pk_add_f16 v17, v84, v17
	v_pk_fma_f16 v84, 0xbbddbacd, v1, v0 op_sel_hi:[1,0,1]
	v_pk_fma_f16 v0, 0xbbddbacd, v1, v0 op_sel_hi:[1,0,1] neg_lo:[0,0,1] neg_hi:[0,0,1]
	v_pk_add_f16 v19, v72, v19
	v_add_f16_e32 v72, v57, v13
	v_pk_add_f16 v18, v85, v18
	v_pk_add_f16 v84, v84, v13 op_sel_hi:[1,0]
	v_pk_fma_f16 v85, 0x3b763722, v2, v11 op_sel_hi:[1,0,1]
	v_pk_add_f16 v0, v0, v13 op_sel_hi:[1,0]
	v_add_f16_e32 v72, v55, v72
	v_pk_fma_f16 v11, 0x3b763722, v2, v11 op_sel_hi:[1,0,1] neg_lo:[0,0,1] neg_hi:[0,0,1]
	v_pk_mul_f16 v20, 0x39643a62, v20 op_sel_hi:[1,0]
	v_pk_add_f16 v84, v85, v84
	v_pk_fma_f16 v85, 0xbacd2de8, v12, v15 op_sel_hi:[1,0,1]
	v_add_f16_e32 v72, v54, v72
	v_pk_add_f16 v0, v11, v0
	v_pk_fma_f16 v11, 0xbacd2de8, v12, v15 op_sel_hi:[1,0,1] neg_lo:[0,0,1] neg_hi:[0,0,1]
	v_pk_mul_f16 v23, 0xba62b5c8, v23 op_sel_hi:[1,0]
	v_pk_add_f16 v15, v85, v84
	v_add_f16_e32 v72, v52, v72
	v_pk_fma_f16 v84, 0x39e9b8d2, v16, v20 op_sel_hi:[1,0,1]
	v_pk_add_f16 v0, v11, v0
	v_pk_fma_f16 v11, 0x39e9b8d2, v16, v20 op_sel_hi:[1,0,1] neg_lo:[0,0,1] neg_hi:[0,0,1]
	v_pk_mul_f16 v28, 0x3b29b1e1, v28 op_sel_hi:[1,0]
	v_add_f16_e32 v20, v45, v72
	v_pk_add_f16 v15, v84, v15
	v_pk_fma_f16 v72, 0xb8d23b76, v22, v23 op_sel_hi:[1,0,1]
	v_pk_add_f16 v0, v11, v0
	v_pk_mul_f16 v33, 0xbbb23964, v33 op_sel_hi:[1,0]
	v_add_f16_e32 v11, v43, v20
	v_pk_fma_f16 v20, 0xb8d23b76, v22, v23 op_sel_hi:[1,0,1] neg_lo:[0,0,1] neg_hi:[0,0,1]
	v_pk_add_f16 v15, v72, v15
	v_pk_fma_f16 v23, 0x3722bbdd, v25, v28 op_sel_hi:[1,0,1]
	s_load_dwordx2 s[2:3], s[2:3], 0x0
	v_add_f16_e32 v11, v40, v11
	v_pk_add_f16 v0, v20, v0
	v_pk_fma_f16 v20, 0x3722bbdd, v25, v28 op_sel_hi:[1,0,1] neg_lo:[0,0,1] neg_hi:[0,0,1]
	v_pk_add_f16 v15, v23, v15
	v_pk_fma_f16 v23, 0xb8d2b461, v1, v66 op_sel_hi:[1,0,1] neg_lo:[0,0,1] neg_hi:[0,0,1]
	v_add_f16_e32 v11, v3, v11
	v_pk_fma_f16 v28, 0xb46139e9, v67, v33 op_sel_hi:[1,0,1]
	v_pk_add_f16 v0, v20, v0
	v_pk_fma_f16 v20, 0xb46139e9, v67, v33 op_sel_hi:[1,0,1] neg_lo:[0,0,1] neg_hi:[0,0,1]
	v_pk_add_f16 v23, v23, v13 op_sel_hi:[1,0]
	v_add_f16_e32 v11, v34, v11
	v_pk_fma_f16 v33, 0xb461bacd, v2, v68 op_sel_hi:[1,0,1] neg_lo:[0,0,1] neg_hi:[0,0,1]
	v_pk_add_f16 v15, v28, v15
	v_pk_add_f16 v0, v20, v0
	v_pk_fma_f16 v20, 0x2de83722, v1, v27 op_sel_hi:[1,0,1] neg_lo:[0,0,1] neg_hi:[0,0,1]
	v_add_f16_e32 v11, v51, v11
	v_pk_fma_f16 v1, 0x39e93b76, v1, v14 op_sel_hi:[1,0,1] neg_lo:[0,0,1] neg_hi:[0,0,1]
	v_pk_add_f16 v23, v33, v23
	v_pk_fma_f16 v27, 0x3b7639e9, v12, v73 op_sel_hi:[1,0,1] neg_lo:[0,0,1] neg_hi:[0,0,1]
	v_pk_add_f16 v14, v20, v13 op_sel_hi:[1,0]
	v_add_f16_e32 v11, v49, v11
	v_pk_fma_f16 v20, 0xbbddb8d2, v2, v29 op_sel_hi:[1,0,1] neg_lo:[0,0,1] neg_hi:[0,0,1]
	v_pk_fma_f16 v2, 0x2de839e9, v2, v21 op_sel_hi:[1,0,1] neg_lo:[0,0,1] neg_hi:[0,0,1]
	v_pk_add_f16 v1, v1, v13 op_sel_hi:[1,0]
	v_pk_fma_f16 v21, 0xb461bbdd, v12, v32 op_sel_hi:[1,0,1] neg_lo:[0,0,1] neg_hi:[0,0,1]
	v_add_f16_e32 v11, v56, v11
	v_pk_add_f16 v14, v20, v14
	v_pk_add_f16 v23, v27, v23
	;; [unrolled: 1-line block ×3, first 2 shown]
	v_pk_fma_f16 v20, 0xbacd3722, v16, v75 op_sel_hi:[1,0,1] neg_lo:[0,0,1] neg_hi:[0,0,1]
	v_add_f16_e32 v2, v59, v11
	v_pk_fma_f16 v11, 0xb8d23722, v12, v24 op_sel_hi:[1,0,1] neg_lo:[0,0,1] neg_hi:[0,0,1]
	v_pk_add_f16 v14, v21, v14
	v_pk_fma_f16 v21, 0x3b76b461, v16, v60 op_sel_hi:[1,0,1] neg_lo:[0,0,1] neg_hi:[0,0,1]
	v_pk_add_f16 v12, v20, v23
	;; [unrolled: 2-line block ×5, first 2 shown]
	v_pk_mul_f16 v20, 0x3bf7bbb2, v70 op_sel_hi:[1,0]
	v_pk_add_f16 v1, v11, v1
	v_pk_fma_f16 v11, 0xbacdb461, v22, v31 op_sel_hi:[1,0,1] neg_lo:[0,0,1] neg_hi:[0,0,1]
	v_pk_add_f16 v14, v16, v14
	v_pk_fma_f16 v16, 0x39e92de8, v25, v79 op_sel_hi:[1,0,1] neg_lo:[0,0,1] neg_hi:[0,0,1]
	v_pk_fma_f16 v21, 0xbacd3b76, v25, v74 op_sel_hi:[1,0,1] neg_lo:[0,0,1] neg_hi:[0,0,1]
	;; [unrolled: 1-line block ×3, first 2 shown]
	v_pk_add_f16 v1, v11, v1
	v_pk_fma_f16 v11, 0x2de8b461, v80, v20 op_sel_hi:[1,0,1]
	v_pk_fma_f16 v20, 0x2de8b461, v80, v20 op_sel_hi:[1,0,1] neg_lo:[0,0,1] neg_hi:[0,0,1]
	v_pk_add_f16 v12, v16, v12
	v_pk_fma_f16 v16, 0xbbdd3b76, v67, v78 op_sel_hi:[1,0,1] neg_lo:[0,0,1] neg_hi:[0,0,1]
	v_pk_add_f16 v14, v21, v14
	;; [unrolled: 2-line block ×3, first 2 shown]
	v_pk_fma_f16 v22, 0x3722bacd, v67, v69 op_sel_hi:[1,0,1] neg_lo:[0,0,1] neg_hi:[0,0,1]
	v_add_f16_e32 v2, v61, v2
	v_pk_add_f16 v12, v16, v12
	v_pk_fma_f16 v16, 0x3722b8d2, v80, v83 op_sel_hi:[1,0,1] neg_lo:[0,0,1] neg_hi:[0,0,1]
	v_pk_add_f16 v14, v21, v14
	v_pk_fma_f16 v21, 0x39e9bacd, v80, v82 op_sel_hi:[1,0,1] neg_lo:[0,0,1] neg_hi:[0,0,1]
	;; [unrolled: 2-line block ×3, first 2 shown]
	v_pk_add_f16 v0, v20, v0
	v_add_f16_e32 v2, v64, v2
	v_mad_u32_u24 v60, v10, 34, 0
	v_pk_add_f16 v23, v16, v12
	v_pk_add_f16 v12, v21, v14
	;; [unrolled: 1-line block ×3, first 2 shown]
	v_alignbit_b32 v21, v0, v0, 16
	v_lshlrev_b32_e32 v0, 5, v10
	v_add_f16_e32 v2, v65, v2
	v_pk_add_f16 v20, v11, v15
	v_alignbit_b32 v22, v23, v23, 16
	v_alignbit_b32 v23, v12, v12, 16
	;; [unrolled: 1-line block ×3, first 2 shown]
	v_sub_nc_u32_e32 v11, v60, v0
	ds_write_b16 v60, v2
	ds_write_b128 v60, v[17:20] offset:2
	v_cmp_gt_u32_e64 s0, 51, v10
                                        ; implicit-def: $vgpr26
                                        ; implicit-def: $vgpr25
                                        ; implicit-def: $vgpr27
                                        ; implicit-def: $vgpr29
	ds_write_b128 v60, v[21:24] offset:18
	s_waitcnt lgkmcnt(0)
	s_barrier
	buffer_gl0_inv
	ds_read_u16 v15, v11
	ds_read_u16 v23, v11 offset:2312
	ds_read_u16 v17, v11 offset:1972
	ds_read_u16 v28, v11 offset:1734
	ds_read_u16 v19, v11 offset:1394
	ds_read_u16 v31, v11 offset:1156
	ds_read_u16 v21, v11 offset:816
	ds_read_u16 v33, v11 offset:578
	ds_read_u16 v14, v11 offset:238
	ds_read_u16 v18, v11 offset:3706
	ds_read_u16 v30, v11 offset:3468
	ds_read_u16 v20, v11 offset:3128
	ds_read_u16 v32, v11 offset:2890
	ds_read_u16 v22, v11 offset:2550
	v_lshrrev_b32_e32 v24, 16, v16
	s_and_saveexec_b32 s1, s0
	s_cbranch_execz .LBB0_15
; %bb.14:
	ds_read_u16 v12, v11 offset:476
	ds_read_u16 v24, v11 offset:1054
	;; [unrolled: 1-line block ×7, first 2 shown]
.LBB0_15:
	s_or_b32 exec_lo, exec_lo, s1
	v_add_f16_sdwa v0, v63, v13 dst_sel:DWORD dst_unused:UNUSED_PAD src0_sel:DWORD src1_sel:WORD_1
	v_sub_f16_e32 v2, v57, v65
	v_add_f16_e32 v1, v63, v37
	v_sub_f16_e32 v55, v55, v64
	v_sub_f16_e32 v54, v54, v61
	v_add_f16_e32 v0, v62, v0
	v_add_f16_e32 v61, v53, v42
	;; [unrolled: 1-line block ×3, first 2 shown]
	v_sub_f16_e32 v52, v52, v59
	v_mul_f16_e32 v59, 0xb1e1, v2
	v_add_f16_e32 v0, v58, v0
	v_mul_f16_e32 v64, 0xb964, v55
	v_add_f16_e32 v62, v58, v39
	v_mul_f16_e32 v65, 0x35c8, v55
	v_mul_f16_e32 v67, 0xbb29, v54
	v_add_f16_e32 v0, v53, v0
	v_mul_f16_e32 v53, 0xb5c8, v2
	v_fma_f16 v79, v1, 0xbbdd, -v59
	v_fmamk_f16 v80, v57, 0x39e9, v64
	v_sub_f16_e32 v45, v45, v56
	v_add_f16_e32 v0, v48, v0
	v_fmamk_f16 v78, v1, 0x3b76, v53
	v_add_f16_e32 v56, v47, v41
	v_mul_f16_e32 v68, 0xb836, v54
	v_mul_f16_e32 v70, 0xbbf7, v52
	v_add_f16_e32 v0, v47, v0
	v_add_f16_sdwa v78, v78, v13 dst_sel:DWORD dst_unused:UNUSED_PAD src0_sel:DWORD src1_sel:WORD_1
	v_fmamk_f16 v81, v62, 0x3722, v67
	v_add_f16_sdwa v79, v79, v13 dst_sel:DWORD dst_unused:UNUSED_PAD src0_sel:DWORD src1_sel:WORD_1
	v_add_f16_e32 v58, v48, v44
	v_add_f16_e32 v0, v46, v0
	;; [unrolled: 1-line block ×3, first 2 shown]
	v_sub_f16_e32 v43, v43, v49
	v_mul_f16_e32 v72, 0x3964, v52
	v_mul_f16_e32 v74, 0xbbb2, v45
	v_add_f16_e32 v0, v35, v0
	v_fmamk_f16 v80, v61, 0x2de8, v70
	v_add_f16_e32 v78, v81, v78
	v_add_f16_e32 v49, v46, v50
	v_sub_f16_e32 v40, v40, v51
	v_add_f16_e32 v0, v36, v0
	v_mul_f16_e32 v76, 0xba62, v45
	v_pk_mul_f16 v81, 0xb964bb29, v2 op_sel_hi:[1,0]
	v_pk_mul_f16 v84, 0x2de8b8d2, v57 op_sel_hi:[1,0]
	;; [unrolled: 1-line block ×3, first 2 shown]
	v_add_f16_e32 v0, v50, v0
	v_mul_f16_e32 v50, 0xba62, v43
	v_pk_fma_f16 v83, 0x39e93722, v1, v81 op_sel_hi:[1,0,1]
	v_mul_f16_e32 v51, 0x3b76, v1
	v_pk_fma_f16 v87, 0x2de8b8d2, v57, v85 op_sel_hi:[1,0,1]
	v_add_f16_e32 v0, v41, v0
	v_fma_f16 v41, v57, 0x3b76, -v65
	v_pk_mul_f16 v89, 0xba6231e1, v54 op_sel_hi:[1,0]
	v_mul_f16_e32 v63, 0x39e9, v57
	v_add_f16_e32 v35, v35, v36
	v_add_f16_e32 v0, v44, v0
	v_fma_f16 v44, v62, 0xbacd, -v68
	v_add_f16_e32 v41, v41, v79
	v_fmamk_f16 v79, v58, 0xb461, v74
	v_sub_f16_e32 v36, v3, v34
	v_add_f16_e32 v0, v42, v0
	v_fma_f16 v42, v61, 0x39e9, -v72
	v_add_f16_e32 v41, v44, v41
	v_add_f16_e32 v44, v80, v78
	v_fmamk_f16 v78, v56, 0xb8d2, v50
	v_add_f16_e32 v0, v39, v0
	v_fma_f16 v39, v58, 0xb8d2, -v76
	v_add_f16_e32 v41, v42, v41
	v_add_f16_e32 v42, v79, v44
	v_mul_f16_e32 v44, 0xb836, v40
	v_add_f16_e32 v0, v38, v0
	v_mul_f16_e32 v38, 0x3b29, v43
	v_add_f16_e32 v39, v39, v41
	v_add_f16_e32 v41, v78, v42
	v_fmamk_f16 v78, v49, 0xbacd, v44
	v_mul_f16_e32 v79, 0xbbb2, v40
	v_fma_f16 v42, v56, 0x3722, -v38
	v_pk_mul_f16 v80, 0x39e93722, v1 op_sel_hi:[1,0]
	v_bfi_b32 v53, 0xffff, v53, v81
	v_add_f16_e32 v41, v78, v41
	v_fma_f16 v78, v49, 0xb461, -v79
	v_add_f16_e32 v39, v42, v39
	v_sub_f16_e32 v82, v80, v81
	v_bfi_b32 v51, 0xffff, v51, v80
	v_mul_f16_e32 v66, 0x3722, v62
	v_pk_mul_f16 v88, 0xb8d2bbdd, v62 op_sel_hi:[1,0]
	v_add_f16_e32 v39, v78, v39
	v_add_f16_sdwa v78, v82, v13 dst_sel:DWORD dst_unused:UNUSED_PAD src0_sel:DWORD src1_sel:WORD_1
	v_pk_add_f16 v82, v83, v13 op_sel:[0,1]
	v_sub_f16_e32 v83, v84, v85
	v_pk_mul_f16 v93, 0x38363964, v45 op_sel_hi:[1,0]
	v_pk_add_f16 v51, v51, v53 neg_lo:[0,1] neg_hi:[0,1]
	v_bfi_b32 v53, 0xffff, v63, v84
	v_pk_add_f16 v34, v87, v82
	v_add_f16_e32 v3, v83, v78
	v_pk_mul_f16 v83, 0xb1e13bb2, v52 op_sel_hi:[1,0]
	v_pk_fma_f16 v87, 0xb8d2bbdd, v62, v89 op_sel_hi:[1,0,1]
	v_bfi_b32 v63, 0xffff, v64, v85
	v_mul_f16_e32 v69, 0x2de8, v61
	v_pk_mul_f16 v82, 0xbbddb461, v61 op_sel_hi:[1,0]
	v_pk_fma_f16 v64, 0xbacd39e9, v58, v93 op_sel_hi:[1,0,1]
	v_pk_add_f16 v34, v87, v34
	v_pk_fma_f16 v87, 0xbbddb461, v61, v83 op_sel_hi:[1,0,1]
	v_pk_add_f16 v51, v51, v13 op_sel:[0,1]
	v_pk_add_f16 v53, v53, v63 neg_lo:[0,1] neg_hi:[0,1]
	v_bfi_b32 v63, 0xffff, v66, v88
	v_bfi_b32 v66, 0xffff, v67, v89
	v_pk_add_f16 v34, v87, v34
	v_mul_f16_e32 v73, 0xb461, v58
	v_pk_mul_f16 v92, 0xbacd39e9, v58 op_sel_hi:[1,0]
	v_pk_add_f16 v51, v53, v51
	v_pk_add_f16 v53, v63, v66 neg_lo:[0,1] neg_hi:[0,1]
	v_pk_add_f16 v34, v64, v34
	v_bfi_b32 v63, 0xffff, v69, v82
	v_bfi_b32 v64, 0xffff, v70, v83
	v_mul_f16_e32 v77, 0xb8d2, v56
	v_pk_mul_f16 v80, 0xb4613b76, v56 op_sel_hi:[1,0]
	v_pk_mul_f16 v81, 0x3bb2b5c8, v43 op_sel_hi:[1,0]
	v_pk_add_f16 v51, v53, v51
	v_pk_add_f16 v53, v63, v64 neg_lo:[0,1] neg_hi:[0,1]
	v_bfi_b32 v63, 0xffff, v73, v92
	v_bfi_b32 v64, 0xffff, v74, v93
	v_mul_f16_e32 v42, 0xbacd, v49
	v_sub_f16_e32 v78, v88, v89
	v_pk_mul_f16 v69, 0x37222de8, v49 op_sel_hi:[1,0]
	v_pk_mul_f16 v70, 0x3b29bbf7, v40 op_sel_hi:[1,0]
	v_pk_add_f16 v51, v53, v51
	v_pk_add_f16 v53, v63, v64 neg_lo:[0,1] neg_hi:[0,1]
	v_bfi_b32 v63, 0xffff, v77, v80
	v_bfi_b32 v50, 0xffff, v50, v81
	v_mul_f16_e32 v91, 0xb1e1, v36
	v_add_f16_e32 v3, v78, v3
	v_sub_f16_e32 v78, v82, v83
	v_pk_fma_f16 v66, 0xb4613b76, v56, v81 op_sel_hi:[1,0,1]
	v_pk_add_f16 v51, v53, v51
	v_pk_add_f16 v50, v63, v50 neg_lo:[0,1] neg_hi:[0,1]
	v_bfi_b32 v42, 0xffff, v42, v69
	v_bfi_b32 v44, 0xffff, v44, v70
	v_pk_mul_f16 v53, 0xbbb2bbf7, v2 op_sel_hi:[1,0]
	v_mul_f16_e32 v90, 0xbbdd, v35
	v_add_f16_e32 v3, v78, v3
	v_sub_f16_e32 v78, v92, v93
	v_fmamk_f16 v67, v35, 0xbbdd, v91
	v_pk_add_f16 v66, v66, v34
	v_pk_fma_f16 v74, 0x37222de8, v49, v70 op_sel_hi:[1,0,1]
	v_pk_mul_f16 v63, 0x3b76bacd, v35 op_sel_hi:[1,0]
	v_pk_mul_f16 v64, 0x35c8b836, v36 op_sel_hi:[1,0]
	v_pk_add_f16 v50, v50, v51
	v_pk_add_f16 v42, v42, v44 neg_lo:[0,1] neg_hi:[0,1]
	v_fmamk_f16 v44, v1, 0x2de8, v53
	v_pk_fma_f16 v51, 0xb4612de8, v1, v53 op_sel_hi:[1,0,1] neg_lo:[0,0,1] neg_hi:[0,0,1]
	v_pk_mul_f16 v53, 0x3836b1e1, v55 op_sel_hi:[1,0]
	v_add_f16_e32 v3, v78, v3
	v_sub_f16_e32 v78, v80, v81
	v_sub_f16_e32 v73, v69, v70
	v_add_f16_e32 v34, v67, v41
	v_pk_add_f16 v41, v74, v66
	v_bfi_b32 v66, 0xffff, v90, v63
	v_bfi_b32 v67, 0xffff, v91, v64
	v_add_f16_sdwa v44, v44, v13 dst_sel:DWORD dst_unused:UNUSED_PAD src0_sel:DWORD src1_sel:WORD_1
	v_pk_add_f16 v51, v51, v13 op_sel:[0,1]
	v_fmamk_f16 v69, v57, 0xbbdd, v53
	v_pk_fma_f16 v53, 0xbacdbbdd, v57, v53 op_sel_hi:[1,0,1] neg_lo:[0,0,1] neg_hi:[0,0,1]
	v_pk_mul_f16 v70, 0x39643bb2, v54 op_sel_hi:[1,0]
	v_add_f16_e32 v3, v78, v3
	v_pk_add_f16 v42, v42, v50
	v_pk_add_f16 v50, v66, v67 neg_lo:[0,1] neg_hi:[0,1]
	v_add_f16_e32 v44, v69, v44
	v_pk_add_f16 v51, v53, v51
	v_fmamk_f16 v53, v62, 0xb461, v70
	v_pk_fma_f16 v66, 0x39e9b461, v62, v70 op_sel_hi:[1,0,1] neg_lo:[0,0,1] neg_hi:[0,0,1]
	v_pk_mul_f16 v67, 0xbb2935c8, v52 op_sel_hi:[1,0]
	v_add_f16_e32 v3, v73, v3
	v_pk_add_f16 v42, v50, v42
	v_sub_f16_e32 v50, v63, v64
	v_add_f16_e32 v44, v53, v44
	v_pk_add_f16 v51, v66, v51
	v_fmamk_f16 v53, v61, 0x3b76, v67
	v_pk_fma_f16 v63, 0x37223b76, v61, v67 op_sel_hi:[1,0,1] neg_lo:[0,0,1] neg_hi:[0,0,1]
	v_pk_mul_f16 v66, 0xb1e1bb29, v45 op_sel_hi:[1,0]
	v_pk_fma_f16 v64, 0x3b76bacd, v35, v64 op_sel_hi:[1,0,1]
	v_add_f16_e32 v50, v50, v3
	v_add_f16_e32 v44, v53, v44
	v_pk_add_f16 v51, v63, v51
	v_fmamk_f16 v53, v58, 0x3722, v66
	v_pk_fma_f16 v63, 0xbbdd3722, v58, v66 op_sel_hi:[1,0,1] neg_lo:[0,0,1] neg_hi:[0,0,1]
	v_pk_add_f16 v3, v64, v41
	v_pk_mul_f16 v41, 0x3bf7b836, v43 op_sel_hi:[1,0]
	v_pk_mul_f16 v67, 0xb5c83a62, v40 op_sel_hi:[1,0]
	v_add_f16_e32 v44, v53, v44
	v_pk_add_f16 v51, v63, v51
	v_pk_mul_f16 v73, 0xb8d239e9, v35 op_sel_hi:[1,0]
	v_fmamk_f16 v64, v56, 0xbacd, v41
	v_pk_fma_f16 v41, 0x2de8bacd, v56, v41 op_sel_hi:[1,0,1] neg_lo:[0,0,1] neg_hi:[0,0,1]
	v_pk_mul_f16 v74, 0xba623964, v36 op_sel_hi:[1,0]
	v_mul_f16_e32 v48, 0xbbdd, v1
	v_pk_mul_f16 v66, 0xb836ba62, v2 op_sel_hi:[1,0]
	v_add_f16_e32 v44, v64, v44
	v_pk_add_f16 v41, v41, v51
	v_fmamk_f16 v51, v49, 0xb8d2, v67
	v_pk_mul_f16 v2, 0xbbb2ba62, v2 op_sel_hi:[1,0]
	v_mul_f16_e32 v47, 0x3b76, v57
	v_pk_fma_f16 v53, 0xbacdb8d2, v1, v66 op_sel_hi:[1,0,1] neg_lo:[0,0,1] neg_hi:[0,0,1]
	v_pk_mul_f16 v63, 0x3b293bb2, v55 op_sel_hi:[1,0]
	v_add_f16_e32 v44, v51, v44
	v_add_f16_e32 v51, v73, v74
	v_pk_mul_f16 v78, 0x3722b461, v57 op_sel_hi:[1,0]
	v_mul_f16_e32 v46, 0xbacd, v62
	v_pk_add_f16 v53, v53, v13 op_sel:[0,1]
	v_pk_fma_f16 v69, 0x3722b461, v57, v63 op_sel_hi:[1,0,1] neg_lo:[0,0,1] neg_hi:[0,0,1]
	v_add_f16_e32 v44, v51, v44
	v_pk_mul_f16 v51, 0xbacdb8d2, v1 op_sel_hi:[1,0]
	v_pk_fma_f16 v1, 0xb461b8d2, v1, v2 op_sel_hi:[1,0,1]
	v_pk_mul_f16 v2, 0x38363bb2, v55 op_sel_hi:[1,0]
	v_pk_mul_f16 v70, 0xbbf7b5c8, v54 op_sel_hi:[1,0]
	;; [unrolled: 1-line block ×3, first 2 shown]
	v_bfi_b32 v48, 0xffff, v48, v51
	v_bfi_b32 v51, 0xffff, v59, v66
	v_pk_add_f16 v1, v1, v13 op_sel:[0,1]
	v_pk_fma_f16 v2, 0xbacdb461, v57, v2 op_sel_hi:[1,0,1]
	v_pk_mul_f16 v54, 0x3964b5c8, v54 op_sel_hi:[1,0]
	v_bfi_b32 v47, 0xffff, v47, v78
	v_pk_add_f16 v48, v48, v51
	v_bfi_b32 v51, 0xffff, v65, v63
	v_mul_f16_e32 v71, 0x39e9, v61
	v_pk_add_f16 v53, v69, v53
	v_pk_mul_f16 v69, 0x3a62b836, v52 op_sel_hi:[1,0]
	v_pk_mul_f16 v81, 0xb8d2bacd, v61 op_sel_hi:[1,0]
	v_pk_add_f16 v1, v2, v1
	v_pk_fma_f16 v2, 0x39e93b76, v62, v54 op_sel_hi:[1,0,1]
	v_pk_mul_f16 v52, 0xbb29b836, v52 op_sel_hi:[1,0]
	v_pk_add_f16 v13, v48, v13 op_sel:[0,1]
	v_pk_add_f16 v47, v47, v51
	v_bfi_b32 v46, 0xffff, v46, v80
	v_bfi_b32 v48, 0xffff, v68, v70
	v_mul_f16_e32 v75, 0xb8d2, v58
	v_pk_fma_f16 v67, 0x3b76b8d2, v49, v67 op_sel_hi:[1,0,1] neg_lo:[0,0,1] neg_hi:[0,0,1]
	v_pk_mul_f16 v77, 0xb5c83bf7, v45 op_sel_hi:[1,0]
	v_pk_mul_f16 v82, 0x3b762de8, v58 op_sel_hi:[1,0]
	v_pk_add_f16 v1, v2, v1
	v_pk_fma_f16 v2, 0x3722bacd, v61, v52 op_sel_hi:[1,0,1]
	v_pk_mul_f16 v45, 0xb1e13bf7, v45 op_sel_hi:[1,0]
	v_pk_add_f16 v13, v47, v13
	v_pk_add_f16 v46, v46, v48
	v_bfi_b32 v47, 0xffff, v71, v81
	v_bfi_b32 v48, 0xffff, v72, v69
	v_pk_fma_f16 v64, 0x2de83b76, v62, v70 op_sel_hi:[1,0,1] neg_lo:[0,0,1] neg_hi:[0,0,1]
	v_add_f16_e32 v0, v37, v0
	v_mul_f16_e32 v37, 0x3722, v56
	v_pk_add_f16 v41, v67, v41
	v_pk_mul_f16 v67, 0xb1e1b964, v43 op_sel_hi:[1,0]
	v_pk_mul_f16 v83, 0xbbdd39e9, v56 op_sel_hi:[1,0]
	v_pk_add_f16 v1, v2, v1
	v_pk_fma_f16 v2, 0xbbdd2de8, v58, v45 op_sel_hi:[1,0,1]
	v_pk_mul_f16 v43, 0x3bf7b964, v43 op_sel_hi:[1,0]
	v_pk_add_f16 v13, v46, v13
	v_pk_add_f16 v45, v47, v48
	v_bfi_b32 v46, 0xffff, v75, v82
	v_bfi_b32 v47, 0xffff, v76, v77
	v_pk_add_f16 v53, v64, v53
	v_pk_fma_f16 v64, 0xb8d2bacd, v61, v69 op_sel_hi:[1,0,1] neg_lo:[0,0,1] neg_hi:[0,0,1]
	v_mul_f16_e32 v86, 0xb461, v49
	v_pk_fma_f16 v73, 0xb8d239e9, v35, v74 op_sel_hi:[1,0,1] neg_lo:[0,0,1] neg_hi:[0,0,1]
	v_pk_mul_f16 v74, 0x3964b1e1, v40 op_sel_hi:[1,0]
	v_pk_mul_f16 v84, 0x39e9bbdd, v49 op_sel_hi:[1,0]
	v_pk_add_f16 v1, v2, v1
	v_pk_fma_f16 v2, 0x2de839e9, v56, v43 op_sel_hi:[1,0,1]
	v_pk_mul_f16 v40, 0xb5c8b1e1, v40 op_sel_hi:[1,0]
	v_pk_add_f16 v13, v45, v13
	v_pk_add_f16 v43, v46, v47
	v_bfi_b32 v37, 0xffff, v37, v83
	v_bfi_b32 v38, 0xffff, v38, v67
	v_pk_add_f16 v53, v64, v53
	v_pk_fma_f16 v64, 0x3b762de8, v58, v77 op_sel_hi:[1,0,1] neg_lo:[0,0,1] neg_hi:[0,0,1]
	v_pk_mul_f16 v55, 0xb4613722, v35 op_sel_hi:[1,0]
	v_pk_mul_f16 v45, 0xbbb23b29, v36 op_sel_hi:[1,0]
	v_pk_add_f16 v1, v2, v1
	v_pk_fma_f16 v2, 0x3b76bbdd, v49, v40 op_sel_hi:[1,0,1]
	v_pk_add_f16 v13, v43, v13
	v_pk_add_f16 v37, v37, v38
	v_bfi_b32 v38, 0xffff, v86, v84
	v_bfi_b32 v40, 0xffff, v79, v74
	v_mul_f16_e32 v43, 0x2de8, v35
	v_mul_f16_e32 v46, 0x3bf7, v36
	v_pk_add_f16 v53, v64, v53
	v_pk_fma_f16 v64, 0xbbdd39e9, v56, v67 op_sel_hi:[1,0,1] neg_lo:[0,0,1] neg_hi:[0,0,1]
	v_pk_mul_f16 v36, 0xba623b29, v36 op_sel_hi:[1,0]
	v_pk_add_f16 v13, v37, v13
	v_pk_add_f16 v37, v38, v40
	v_bfi_b32 v38, 0xffff, v43, v55
	v_bfi_b32 v40, 0xffff, v46, v45
	v_pk_add_f16 v53, v64, v53
	v_pk_fma_f16 v64, 0x39e9bbdd, v49, v74 op_sel_hi:[1,0,1] neg_lo:[0,0,1] neg_hi:[0,0,1]
	v_pk_fma_f16 v43, 0xb4613722, v35, v45 op_sel_hi:[1,0,1] neg_lo:[0,0,1] neg_hi:[0,0,1]
	v_pk_add_f16 v1, v2, v1
	v_pk_fma_f16 v2, 0xb8d23722, v35, v36 op_sel_hi:[1,0,1]
	v_pk_add_f16 v13, v37, v13
	v_pk_add_f16 v36, v38, v40
	v_fma_f16 v35, v35, 0x2de8, -v46
	v_pk_add_f16 v53, v64, v53
	v_pk_add_f16 v1, v2, v1
	;; [unrolled: 1-line block ×4, first 2 shown]
	v_add_f16_e32 v39, v35, v39
	v_pk_add_f16 v38, v43, v53
	v_alignbit_b32 v36, v50, v42, 16
	v_pack_b32_f16 v35, v0, v42
	v_alignbit_b32 v2, v44, v1, 16
	v_alignbit_b32 v1, v1, v13, 16
	v_pack_b32_f16 v0, v39, v13
	s_waitcnt lgkmcnt(0)
	s_barrier
	buffer_gl0_inv
	ds_write_b128 v60, v[35:38]
	ds_write_b128 v60, v[0:3] offset:16
	ds_write_b16 v60, v34 offset:32
	s_waitcnt lgkmcnt(0)
	s_barrier
	buffer_gl0_inv
	ds_read_u16 v2, v11
	ds_read_u16 v49, v11 offset:2312
	ds_read_u16 v43, v11 offset:1972
	;; [unrolled: 1-line block ×13, first 2 shown]
                                        ; implicit-def: $vgpr51
                                        ; implicit-def: $vgpr50
                                        ; implicit-def: $vgpr52
                                        ; implicit-def: $vgpr55
	s_and_saveexec_b32 s1, s0
	s_cbranch_execz .LBB0_17
; %bb.16:
	ds_read_u16 v3, v11 offset:476
	ds_read_u16 v34, v11 offset:1632
	;; [unrolled: 1-line block ×4, first 2 shown]
	s_waitcnt lgkmcnt(3)
	ds_read_u16_d16_hi v3, v11 offset:1054
	ds_read_u16 v55, v11 offset:2210
	ds_read_u16 v52, v11 offset:3366
.LBB0_17:
	s_or_b32 exec_lo, exec_lo, s1
	v_and_b32_e32 v1, 0xff, v10
	v_mov_b32_e32 v35, 0xf0f1
	v_mov_b32_e32 v37, 6
	v_add_nc_u16 v40, v10, 0x77
	v_mov_b32_e32 v59, 1
	v_mul_lo_u16 v1, 0xf1, v1
	s_waitcnt lgkmcnt(2)
	v_lshrrev_b32_e32 v84, 16, v3
	v_lshrrev_b16 v13, 12, v1
	v_add_nc_u32_e32 v1, 0xee, v10
	v_mul_lo_u16 v36, v13, 17
	v_mul_u32_u24_sdwa v35, v1, v35 dst_sel:DWORD dst_unused:UNUSED_PAD src0_sel:WORD_0 src1_sel:DWORD
	v_sub_nc_u16 v36, v10, v36
	v_lshrrev_b32_e32 v35, 20, v35
	v_mul_u32_u24_sdwa v38, v36, v37 dst_sel:DWORD dst_unused:UNUSED_PAD src0_sel:BYTE_0 src1_sel:DWORD
	v_mul_lo_u16 v39, v35, 17
	v_lshlrev_b32_sdwa v36, v59, v36 dst_sel:DWORD dst_unused:UNUSED_PAD src0_sel:DWORD src1_sel:BYTE_0
	v_lshlrev_b32_e32 v38, 2, v38
	v_sub_nc_u16 v1, v1, v39
	v_and_b32_e32 v39, 0xff, v40
	s_clause 0x1
	global_load_dwordx4 v[66:69], v38, s[12:13]
	global_load_dwordx2 v[78:79], v38, s[12:13] offset:16
	v_mul_lo_u16 v39, 0xf1, v39
	v_mul_u32_u24_sdwa v41, v1, v37 dst_sel:DWORD dst_unused:UNUSED_PAD src0_sel:WORD_0 src1_sel:DWORD
	v_lshrrev_b16 v38, 12, v39
	v_lshlrev_b32_e32 v41, 2, v41
	v_mul_lo_u16 v39, v38, 17
	s_clause 0x1
	global_load_dwordx4 v[70:73], v41, s[12:13]
	global_load_dwordx2 v[80:81], v41, s[12:13] offset:16
	v_sub_nc_u16 v39, v40, v39
	v_mul_u32_u24_sdwa v37, v39, v37 dst_sel:DWORD dst_unused:UNUSED_PAD src0_sel:BYTE_0 src1_sel:DWORD
	v_lshlrev_b32_e32 v37, 2, v37
	s_clause 0x1
	global_load_dwordx4 v[74:77], v37, s[12:13]
	global_load_dwordx2 v[82:83], v37, s[12:13] offset:16
	v_mov_b32_e32 v37, 0xee
	s_waitcnt vmcnt(0) lgkmcnt(0)
	s_barrier
	buffer_gl0_inv
	v_mul_u32_u24_sdwa v40, v13, v37 dst_sel:DWORD dst_unused:UNUSED_PAD src0_sel:WORD_0 src1_sel:DWORD
	v_mul_u32_u24_sdwa v37, v38, v37 dst_sel:DWORD dst_unused:UNUSED_PAD src0_sel:WORD_0 src1_sel:DWORD
	v_lshlrev_b32_sdwa v38, v59, v39 dst_sel:DWORD dst_unused:UNUSED_PAD src0_sel:DWORD src1_sel:BYTE_0
	v_mul_lo_u16 v13, 0x77, v35
	v_add3_u32 v39, 0, v40, v36
	v_add3_u32 v35, 0, v37, v38
	v_mul_f16_sdwa v61, v58, v66 dst_sel:DWORD dst_unused:UNUSED_PAD src0_sel:DWORD src1_sel:WORD_1
	v_mul_f16_sdwa v85, v33, v66 dst_sel:DWORD dst_unused:UNUSED_PAD src0_sel:DWORD src1_sel:WORD_1
	v_mul_f16_sdwa v60, v56, v67 dst_sel:DWORD dst_unused:UNUSED_PAD src0_sel:DWORD src1_sel:WORD_1
	v_mul_f16_sdwa v86, v31, v67 dst_sel:DWORD dst_unused:UNUSED_PAD src0_sel:DWORD src1_sel:WORD_1
	v_mul_f16_sdwa v62, v53, v68 dst_sel:DWORD dst_unused:UNUSED_PAD src0_sel:DWORD src1_sel:WORD_1
	v_mul_f16_sdwa v87, v28, v68 dst_sel:DWORD dst_unused:UNUSED_PAD src0_sel:DWORD src1_sel:WORD_1
	v_mul_f16_sdwa v63, v49, v69 dst_sel:DWORD dst_unused:UNUSED_PAD src0_sel:DWORD src1_sel:WORD_1
	v_mul_f16_sdwa v88, v23, v69 dst_sel:DWORD dst_unused:UNUSED_PAD src0_sel:DWORD src1_sel:WORD_1
	v_mul_f16_sdwa v64, v57, v78 dst_sel:DWORD dst_unused:UNUSED_PAD src0_sel:DWORD src1_sel:WORD_1
	v_mul_f16_sdwa v89, v32, v78 dst_sel:DWORD dst_unused:UNUSED_PAD src0_sel:DWORD src1_sel:WORD_1
	v_mul_f16_sdwa v65, v54, v79 dst_sel:DWORD dst_unused:UNUSED_PAD src0_sel:DWORD src1_sel:WORD_1
	v_mul_f16_sdwa v90, v30, v79 dst_sel:DWORD dst_unused:UNUSED_PAD src0_sel:DWORD src1_sel:WORD_1
	v_fmac_f16_e32 v61, v33, v66
	v_mul_f16_sdwa v37, v84, v70 dst_sel:DWORD dst_unused:UNUSED_PAD src0_sel:DWORD src1_sel:WORD_1
	v_mul_f16_sdwa v92, v16, v71 dst_sel:DWORD dst_unused:UNUSED_PAD src0_sel:DWORD src1_sel:WORD_1
	;; [unrolled: 1-line block ×3, first 2 shown]
	v_fma_f16 v58, v58, v66, -v85
	v_fmac_f16_e32 v60, v31, v67
	v_fma_f16 v56, v56, v67, -v86
	v_fmac_f16_e32 v62, v28, v68
	;; [unrolled: 2-line block ×5, first 2 shown]
	v_fma_f16 v54, v54, v79, -v90
	v_mul_f16_sdwa v91, v24, v70 dst_sel:DWORD dst_unused:UNUSED_PAD src0_sel:DWORD src1_sel:WORD_1
	v_mul_f16_sdwa v36, v34, v71 dst_sel:DWORD dst_unused:UNUSED_PAD src0_sel:DWORD src1_sel:WORD_1
	;; [unrolled: 1-line block ×21, first 2 shown]
	v_fmac_f16_e32 v37, v24, v70
	v_fma_f16 v24, v34, v71, -v92
	v_fmac_f16_e32 v38, v29, v72
	v_fmac_f16_e32 v30, v21, v74
	v_fmac_f16_e32 v28, v19, v75
	v_fma_f16 v19, v45, v75, -v68
	v_fmac_f16_e32 v33, v20, v82
	v_fma_f16 v20, v46, v82, -v79
	v_fmac_f16_e32 v49, v18, v83
	v_fma_f16 v18, v44, v83, -v85
	v_add_f16_e32 v29, v61, v65
	v_add_f16_e32 v34, v60, v64
	;; [unrolled: 1-line block ×3, first 2 shown]
	v_sub_f16_e32 v45, v56, v57
	v_sub_f16_e32 v46, v66, v53
	v_fmac_f16_e32 v40, v26, v73
	v_fma_f16 v26, v51, v73, -v94
	v_fmac_f16_e32 v41, v27, v80
	v_fma_f16 v27, v52, v80, -v95
	;; [unrolled: 2-line block ×3, first 2 shown]
	v_fma_f16 v21, v47, v74, -v67
	v_fmac_f16_e32 v31, v17, v76
	v_fma_f16 v17, v43, v76, -v69
	v_fmac_f16_e32 v32, v22, v77
	v_fma_f16 v22, v48, v77, -v78
	v_sub_f16_e32 v43, v58, v54
	v_add_f16_e32 v47, v34, v29
	v_sub_f16_e32 v48, v34, v29
	v_sub_f16_e32 v29, v29, v44
	;; [unrolled: 1-line block ×3, first 2 shown]
	v_add_f16_e32 v50, v46, v45
	v_sub_f16_e32 v51, v46, v45
	v_add_f16_e32 v52, v30, v49
	v_add_f16_e32 v67, v28, v33
	v_fma_f16 v23, v84, v70, -v91
	v_fmac_f16_e32 v36, v16, v71
	v_fma_f16 v16, v55, v72, -v93
	v_sub_f16_e32 v46, v43, v46
	v_sub_f16_e32 v45, v45, v43
	;; [unrolled: 1-line block ×4, first 2 shown]
	v_add_f16_e32 v69, v31, v32
	v_sub_f16_e32 v70, v22, v17
	v_add_f16_e32 v44, v44, v47
	v_add_f16_e32 v43, v50, v43
	v_mul_f16_e32 v29, 0x3a52, v29
	v_mul_f16_e32 v47, 0x2b26, v34
	;; [unrolled: 1-line block ×3, first 2 shown]
	v_add_f16_e32 v71, v67, v52
	v_mul_f16_e32 v51, 0xbb00, v45
	v_sub_f16_e32 v72, v67, v52
	v_sub_f16_e32 v52, v52, v69
	v_sub_f16_e32 v67, v69, v67
	v_add_f16_e32 v73, v70, v68
	v_sub_f16_e32 v74, v70, v68
	v_sub_f16_e32 v68, v68, v55
	v_add_f16_e32 v15, v15, v44
	v_fmamk_f16 v34, v34, 0x2b26, v29
	v_fma_f16 v47, v48, 0x39e0, -v47
	v_fma_f16 v29, v48, 0xb9e0, -v29
	v_fmamk_f16 v48, v46, 0xb574, v50
	v_fma_f16 v45, v45, 0xbb00, -v50
	v_add_f16_e32 v50, v69, v71
	v_sub_f16_e32 v70, v55, v70
	v_fma_f16 v46, v46, 0x3574, -v51
	v_add_f16_e32 v51, v73, v55
	v_mul_f16_e32 v52, 0x3a52, v52
	v_mul_f16_e32 v55, 0x2b26, v67
	;; [unrolled: 1-line block ×4, first 2 shown]
	v_fmamk_f16 v44, v44, 0xbcab, v15
	v_add_f16_e32 v14, v14, v50
	v_fmac_f16_e32 v48, 0xb70e, v43
	v_fmac_f16_e32 v45, 0xb70e, v43
	;; [unrolled: 1-line block ×3, first 2 shown]
	v_fmamk_f16 v43, v67, 0x2b26, v52
	v_fma_f16 v55, v72, 0x39e0, -v55
	v_fma_f16 v52, v72, 0xb9e0, -v52
	v_fmamk_f16 v67, v70, 0xb574, v69
	v_fma_f16 v68, v68, 0xbb00, -v69
	v_fma_f16 v69, v70, 0x3574, -v71
	ds_write_b16 v39, v15
	v_add_f16_e32 v15, v34, v44
	v_add_f16_e32 v34, v47, v44
	;; [unrolled: 1-line block ×3, first 2 shown]
	v_fmamk_f16 v44, v50, 0xbcab, v14
	v_fmac_f16_e32 v67, 0xb70e, v51
	v_fmac_f16_e32 v68, 0xb70e, v51
	;; [unrolled: 1-line block ×3, first 2 shown]
	v_add_f16_e32 v47, v48, v15
	v_sub_f16_e32 v51, v34, v45
	v_add_f16_e32 v34, v45, v34
	v_add_f16_e32 v43, v43, v44
	;; [unrolled: 1-line block ×5, first 2 shown]
	v_sub_f16_e32 v29, v29, v46
	v_sub_f16_e32 v15, v15, v48
	v_add_f16_e32 v46, v67, v43
	v_add_f16_e32 v48, v69, v45
	v_sub_f16_e32 v52, v44, v68
	v_add_f16_e32 v44, v68, v44
	v_sub_f16_e32 v45, v45, v69
	v_sub_f16_e32 v43, v43, v67
	ds_write_b16 v39, v47 offset:34
	ds_write_b16 v39, v50 offset:68
	;; [unrolled: 1-line block ×6, first 2 shown]
	ds_write_b16 v35, v14
	ds_write_b16 v35, v46 offset:34
	ds_write_b16 v35, v48 offset:68
	;; [unrolled: 1-line block ×6, first 2 shown]
	s_and_saveexec_b32 s1, s0
	s_cbranch_execz .LBB0_19
; %bb.18:
	v_add_f16_e32 v14, v37, v42
	v_add_f16_e32 v15, v36, v41
	;; [unrolled: 1-line block ×3, first 2 shown]
	v_sub_f16_e32 v43, v26, v16
	v_sub_f16_e32 v45, v24, v27
	v_sub_f16_e32 v34, v23, v25
	v_add_f16_e32 v44, v15, v14
	v_sub_f16_e32 v46, v14, v29
	v_sub_f16_e32 v47, v29, v15
	v_sub_f16_e32 v14, v15, v14
	v_sub_f16_e32 v48, v34, v43
	v_add_f16_e32 v29, v29, v44
	v_sub_f16_e32 v44, v43, v45
	v_add_f16_e32 v43, v43, v45
	v_sub_f16_e32 v45, v45, v34
	v_mul_f16_e32 v46, 0x3a52, v46
	v_add_f16_e32 v12, v12, v29
	v_mul_f16_e32 v44, 0x3846, v44
	v_add_f16_e32 v34, v43, v34
	v_mul_f16_e32 v15, 0xbb00, v45
	v_fmamk_f16 v50, v47, 0x2b26, v46
	v_fma_f16 v43, v14, 0xb9e0, -v46
	v_mul_f16_e32 v46, 0x2b26, v47
	v_fmamk_f16 v29, v29, 0xbcab, v12
	v_fmamk_f16 v51, v48, 0xb574, v44
	v_fma_f16 v15, v48, 0x3574, -v15
	v_fma_f16 v44, v45, 0xbb00, -v44
	v_fma_f16 v14, v14, 0x39e0, -v46
	v_lshlrev_b32_sdwa v45, v59, v1 dst_sel:DWORD dst_unused:UNUSED_PAD src0_sel:DWORD src1_sel:WORD_0
	v_lshlrev_b32_sdwa v46, v59, v13 dst_sel:DWORD dst_unused:UNUSED_PAD src0_sel:DWORD src1_sel:WORD_0
	v_add_f16_e32 v47, v50, v29
	v_fmac_f16_e32 v51, 0xb70e, v34
	v_add_f16_e32 v43, v43, v29
	v_fmac_f16_e32 v15, 0xb70e, v34
	v_fmac_f16_e32 v44, 0xb70e, v34
	v_add_f16_e32 v14, v14, v29
	v_add3_u32 v34, 0, v45, v46
	v_add_f16_e32 v45, v51, v47
	v_sub_f16_e32 v29, v43, v15
	v_add_f16_e32 v15, v15, v43
	v_sub_f16_e32 v43, v14, v44
	;; [unrolled: 2-line block ×3, first 2 shown]
	ds_write_b16 v34, v12
	ds_write_b16 v34, v45 offset:34
	ds_write_b16 v34, v15 offset:68
	;; [unrolled: 1-line block ×6, first 2 shown]
.LBB0_19:
	s_or_b32 exec_lo, exec_lo, s1
	v_add_f16_e32 v12, v58, v54
	v_add_f16_e32 v14, v56, v57
	v_add_f16_e32 v29, v53, v66
	v_sub_f16_e32 v34, v60, v64
	v_sub_f16_e32 v43, v63, v62
	v_sub_f16_e32 v15, v61, v65
	v_add_f16_e32 v44, v14, v12
	v_sub_f16_e32 v45, v14, v12
	v_sub_f16_e32 v12, v12, v29
	;; [unrolled: 1-line block ×3, first 2 shown]
	v_add_f16_e32 v46, v43, v34
	v_add_f16_e32 v29, v29, v44
	v_sub_f16_e32 v44, v43, v34
	v_sub_f16_e32 v34, v34, v15
	;; [unrolled: 1-line block ×3, first 2 shown]
	v_add_f16_e32 v15, v46, v15
	v_add_f16_e32 v51, v2, v29
	v_mul_f16_e32 v2, 0x3a52, v12
	v_mul_f16_e32 v12, 0x2b26, v14
	;; [unrolled: 1-line block ×4, first 2 shown]
	v_fmamk_f16 v29, v29, 0xbcab, v51
	v_fmamk_f16 v14, v14, 0x2b26, v2
	v_fma_f16 v12, v45, 0x39e0, -v12
	v_fma_f16 v34, v34, 0xbb00, -v44
	;; [unrolled: 1-line block ×3, first 2 shown]
	v_fmamk_f16 v45, v43, 0xb574, v44
	v_fma_f16 v43, v43, 0x3574, -v46
	v_add_f16_e32 v12, v12, v29
	v_fmac_f16_e32 v34, 0xb70e, v15
	v_add_f16_e32 v17, v17, v22
	v_fmac_f16_e32 v45, 0xb70e, v15
	v_fmac_f16_e32 v43, 0xb70e, v15
	v_add_f16_e32 v15, v19, v20
	v_add_f16_e32 v53, v34, v12
	v_sub_f16_e32 v34, v12, v34
	v_add_f16_e32 v12, v21, v18
	v_sub_f16_e32 v19, v28, v33
	v_sub_f16_e32 v20, v32, v31
	v_sub_f16_e32 v18, v30, v49
	v_add_f16_e32 v14, v14, v29
	v_add_f16_e32 v21, v15, v12
	v_sub_f16_e32 v22, v15, v12
	v_sub_f16_e32 v12, v12, v17
	v_sub_f16_e32 v15, v17, v15
	v_add_f16_e32 v28, v20, v19
	;; [unrolled: 5-line block ×3, first 2 shown]
	v_add_f16_e32 v0, v0, v17
	v_mul_f16_e32 v12, 0x3a52, v12
	v_mul_f16_e32 v28, 0x2b26, v15
	;; [unrolled: 1-line block ×4, first 2 shown]
	v_fmamk_f16 v17, v17, 0xbcab, v0
	v_fmamk_f16 v15, v15, 0x2b26, v12
	v_fma_f16 v28, v22, 0x39e0, -v28
	v_fma_f16 v12, v22, 0xb9e0, -v12
	;; [unrolled: 1-line block ×3, first 2 shown]
	v_add_f16_e32 v2, v2, v29
	v_fmamk_f16 v31, v20, 0xb574, v21
	v_fma_f16 v21, v20, 0x3574, -v30
	v_add_f16_e32 v32, v15, v17
	v_add_f16_e32 v15, v28, v17
	;; [unrolled: 1-line block ×3, first 2 shown]
	v_fmac_f16_e32 v19, 0xb70e, v18
	v_lshl_add_u32 v17, v10, 1, 0
	v_sub_f16_e32 v29, v14, v45
	v_sub_f16_e32 v52, v2, v43
	v_fmac_f16_e32 v31, 0xb70e, v18
	v_fmac_f16_e32 v21, 0xb70e, v18
	v_add_f16_e32 v18, v43, v2
	v_add_f16_e32 v54, v45, v14
	;; [unrolled: 1-line block ×3, first 2 shown]
	v_sub_f16_e32 v58, v15, v19
	s_waitcnt lgkmcnt(0)
	s_barrier
	buffer_gl0_inv
	ds_read_u16 v44, v17 offset:476
	ds_read_u16 v2, v11
	ds_read_u16 v46, v11 offset:238
	ds_read_u16 v43, v11 offset:714
	;; [unrolled: 1-line block ×15, first 2 shown]
	v_sub_f16_e32 v55, v32, v31
	v_sub_f16_e32 v56, v28, v21
	v_add_f16_e32 v21, v21, v28
	v_add_f16_e32 v28, v31, v32
	s_waitcnt lgkmcnt(0)
	s_barrier
	buffer_gl0_inv
	ds_write_b16 v39, v51
	ds_write_b16 v39, v29 offset:34
	ds_write_b16 v39, v52 offset:68
	ds_write_b16 v39, v53 offset:102
	ds_write_b16 v39, v34 offset:136
	ds_write_b16 v39, v18 offset:170
	ds_write_b16 v39, v54 offset:204
	ds_write_b16 v35, v0
	ds_write_b16 v35, v55 offset:34
	ds_write_b16 v35, v56 offset:68
	;; [unrolled: 1-line block ×6, first 2 shown]
	s_and_saveexec_b32 s1, s0
	s_cbranch_execz .LBB0_21
; %bb.20:
	v_add_f16_e32 v0, v23, v25
	v_add_f16_e32 v18, v24, v27
	v_add_f16_e32 v16, v16, v26
	v_sub_f16_e32 v23, v36, v41
	v_sub_f16_e32 v24, v40, v38
	;; [unrolled: 1-line block ×3, first 2 shown]
	v_add_f16_e32 v25, v18, v0
	v_sub_f16_e32 v26, v18, v0
	v_sub_f16_e32 v0, v0, v16
	;; [unrolled: 1-line block ×3, first 2 shown]
	v_add_f16_e32 v27, v24, v23
	v_add_f16_e32 v16, v16, v25
	v_sub_f16_e32 v25, v24, v23
	v_sub_f16_e32 v23, v23, v21
	;; [unrolled: 1-line block ×3, first 2 shown]
	v_add_f16_e32 v21, v27, v21
	v_mul_f16_e32 v0, 0x3a52, v0
	v_mul_f16_e32 v27, 0x2b26, v18
	;; [unrolled: 1-line block ×3, first 2 shown]
	v_add_f16_e32 v3, v3, v16
	v_mul_f16_e32 v28, 0xbb00, v23
	v_fmamk_f16 v18, v18, 0x2b26, v0
	v_fma_f16 v27, v26, 0x39e0, -v27
	v_fma_f16 v0, v26, 0xb9e0, -v0
	v_fmamk_f16 v26, v24, 0xb574, v25
	v_fma_f16 v23, v23, 0xbb00, -v25
	v_mov_b32_e32 v25, 1
	v_fmamk_f16 v16, v16, 0xbcab, v3
	v_fma_f16 v24, v24, 0x3574, -v28
	v_fmac_f16_e32 v26, 0xb70e, v21
	v_fmac_f16_e32 v23, 0xb70e, v21
	v_lshlrev_b32_sdwa v1, v25, v1 dst_sel:DWORD dst_unused:UNUSED_PAD src0_sel:DWORD src1_sel:WORD_0
	v_lshlrev_b32_sdwa v13, v25, v13 dst_sel:DWORD dst_unused:UNUSED_PAD src0_sel:DWORD src1_sel:WORD_0
	v_add_f16_e32 v18, v18, v16
	v_add_f16_e32 v0, v0, v16
	v_fmac_f16_e32 v24, 0xb70e, v21
	v_add_f16_e32 v27, v27, v16
	v_add3_u32 v1, 0, v1, v13
	v_sub_f16_e32 v16, v18, v26
	v_add_f16_e32 v18, v26, v18
	v_sub_f16_e32 v21, v0, v24
	v_add_f16_e32 v13, v23, v27
	;; [unrolled: 2-line block ×3, first 2 shown]
	ds_write_b16 v1, v3
	ds_write_b16 v1, v16 offset:34
	ds_write_b16 v1, v21 offset:68
	;; [unrolled: 1-line block ×6, first 2 shown]
.LBB0_21:
	s_or_b32 exec_lo, exec_lo, s1
	s_waitcnt lgkmcnt(0)
	s_barrier
	buffer_gl0_inv
	s_and_saveexec_b32 s0, vcc_lo
	s_cbranch_execz .LBB0_23
; %bb.22:
	v_lshlrev_b32_e32 v0, 4, v10
	v_mov_b32_e32 v1, 0
	v_mul_lo_u32 v10, s3, v8
	v_mul_lo_u32 v9, s2, v9
	v_lshlrev_b64 v[0:1], 2, v[0:1]
	v_add_co_u32 v0, vcc_lo, s12, v0
	v_add_co_ci_u32_e32 v1, vcc_lo, s13, v1, vcc_lo
	s_clause 0x3
	global_load_dwordx4 v[51:54], v[0:1], off offset:408
	global_load_dwordx4 v[55:58], v[0:1], off offset:456
	;; [unrolled: 1-line block ×4, first 2 shown]
	v_mad_u64_u32 v[0:1], null, s2, v8, 0
	ds_read_u16 v8, v11 offset:952
	ds_read_u16 v13, v11 offset:1190
	;; [unrolled: 1-line block ×7, first 2 shown]
	ds_read_u16 v3, v11
	ds_read_u16 v40, v17 offset:476
	ds_read_u16 v67, v11 offset:3808
	;; [unrolled: 1-line block ×9, first 2 shown]
	v_add3_u32 v1, v1, v9, v10
	v_lshlrev_b64 v[0:1], 2, v[0:1]
	s_waitcnt vmcnt(3)
	v_lshrrev_b32_e32 v9, 16, v51
	v_mul_f16_e32 v41, v46, v51
	s_waitcnt vmcnt(2)
	v_lshrrev_b32_e32 v79, 16, v58
	v_mul_f16_e32 v17, v50, v58
	v_lshrrev_b32_e32 v10, 16, v52
	v_lshrrev_b32_e32 v77, 16, v56
	;; [unrolled: 1-line block ×3, first 2 shown]
	v_mul_f16_e32 v42, v44, v52
	v_mul_f16_e32 v18, v49, v57
	;; [unrolled: 1-line block ×3, first 2 shown]
	s_waitcnt vmcnt(1)
	v_lshrrev_b32_e32 v81, 16, v60
	v_lshrrev_b32_e32 v82, 16, v61
	s_waitcnt lgkmcnt(10)
	v_fmac_f16_e32 v41, v26, v9
	s_waitcnt lgkmcnt(7)
	v_fmac_f16_e32 v17, v67, v79
	v_mul_f16_e32 v50, v50, v79
	v_mul_f16_e32 v9, v46, v9
	v_lshrrev_b32_e32 v11, 16, v53
	v_lshrrev_b32_e32 v75, 16, v54
	;; [unrolled: 1-line block ×3, first 2 shown]
	v_mul_f16_e32 v39, v43, v53
	s_waitcnt vmcnt(0)
	v_lshrrev_b32_e32 v85, 16, v64
	v_lshrrev_b32_e32 v86, 16, v65
	v_mul_f16_e32 v34, v19, v60
	v_mul_f16_e32 v32, v15, v61
	v_fmac_f16_e32 v42, v40, v10
	s_waitcnt lgkmcnt(6)
	v_fmac_f16_e32 v18, v68, v78
	v_mul_f16_e32 v46, v49, v78
	v_mul_f16_e32 v10, v44, v10
	s_waitcnt lgkmcnt(5)
	v_fmac_f16_e32 v21, v69, v77
	v_mul_f16_e32 v44, v48, v77
	v_mul_f16_e32 v77, v19, v81
	;; [unrolled: 1-line block ×3, first 2 shown]
	v_sub_f16_e32 v15, v41, v17
	v_fma_f16 v19, v67, v58, -v50
	v_fma_f16 v48, v26, v51, -v9
	v_mul_f16_e32 v38, v30, v54
	v_mul_f16_e32 v23, v47, v55
	v_lshrrev_b32_e32 v87, 16, v66
	v_mul_f16_e32 v27, v33, v65
	v_mul_f16_e32 v28, v20, v64
	v_fmac_f16_e32 v39, v24, v11
	v_mul_f16_e32 v43, v43, v11
	v_mul_f16_e32 v49, v47, v76
	;; [unrolled: 1-line block ×5, first 2 shown]
	v_sub_f16_e32 v11, v42, v18
	v_fma_f16 v20, v68, v57, -v46
	v_fma_f16 v47, v40, v52, -v10
	v_mul_f16_e32 v92, 0xb5c8, v15
	v_add_f16_e32 v93, v48, v19
	v_lshrrev_b32_e32 v80, 16, v59
	v_mul_f16_e32 v25, v45, v66
	v_fmac_f16_e32 v38, v8, v75
	v_mul_f16_e32 v75, v45, v87
	v_fma_f16 v45, v8, v54, -v30
	s_waitcnt lgkmcnt(2)
	v_fma_f16 v30, v72, v65, -v33
	s_waitcnt lgkmcnt(1)
	v_fma_f16 v33, v73, v64, -v78
	v_mul_f16_e32 v90, 0xb964, v11
	v_add_f16_e32 v91, v47, v20
	v_mul_f16_e32 v130, 0xbb29, v15
	v_fmamk_f16 v64, v93, 0x3b76, v92
	v_mul_f16_e32 v35, v22, v59
	v_lshrrev_b32_e32 v84, 16, v63
	v_fmac_f16_e32 v23, v70, v76
	v_mul_f16_e32 v76, v22, v80
	v_sub_f16_e32 v10, v39, v21
	v_fma_f16 v22, v69, v56, -v44
	v_fma_f16 v46, v24, v53, -v43
	v_sub_f16_e32 v152, v48, v19
	v_mul_f16_e32 v126, 0xba62, v11
	v_mul_f16_e32 v95, 0xba62, v15
	v_fmamk_f16 v65, v91, 0x39e9, v90
	v_fmamk_f16 v119, v93, 0x3722, v130
	v_add_f16_e32 v64, v3, v64
	v_mul_f16_e32 v29, v14, v63
	v_fmac_f16_e32 v35, v13, v80
	v_fmac_f16_e32 v34, v16, v81
	;; [unrolled: 1-line block ×3, first 2 shown]
	v_mul_f16_e32 v14, v14, v84
	v_fma_f16 v43, v16, v60, -v77
	v_fma_f16 v40, v36, v61, -v79
	v_add_f16_e32 v16, v41, v17
	v_mul_f16_e32 v80, 0xbb29, v10
	v_add_f16_e32 v82, v46, v22
	v_sub_f16_e32 v147, v47, v20
	v_mul_f16_e32 v110, 0xb964, v15
	v_mul_f16_e32 v100, 0x3bb2, v11
	;; [unrolled: 1-line block ×3, first 2 shown]
	v_fmamk_f16 v123, v91, 0xb8d2, v126
	v_fmamk_f16 v127, v93, 0xb8d2, v95
	v_add_f16_e32 v64, v64, v65
	v_add_f16_e32 v65, v3, v119
	v_fmac_f16_e32 v28, v73, v85
	s_waitcnt lgkmcnt(0)
	v_fmac_f16_e32 v29, v74, v84
	v_fma_f16 v44, v13, v59, -v76
	v_fma_f16 v36, v74, v63, -v14
	v_add_f16_e32 v14, v42, v18
	v_mul_f16_e32 v109, 0xbbf7, v11
	v_mul_f16_e32 v56, 0xb1e1, v15
	v_fmamk_f16 v74, v82, 0x3722, v80
	v_mul_f16_e32 v76, 0xb964, v147
	v_fmamk_f16 v85, v93, 0x39e9, v110
	v_mul_f16_e32 v148, 0xbb29, v152
	v_fmamk_f16 v128, v91, 0xb461, v100
	v_add_f16_e32 v119, v3, v127
	v_add_f16_e32 v65, v65, v123
	v_fma_f16 v123, v16, 0x3b76, -v79
	v_mul_f16_e32 v107, 0xba62, v10
	v_mul_f16_e32 v57, 0x35c8, v11
	v_fmamk_f16 v103, v91, 0x2de8, v109
	v_mul_f16_e32 v108, 0xb964, v152
	v_mul_f16_e32 v145, 0xba62, v147
	v_fmamk_f16 v133, v93, 0xbbdd, v56
	v_fma_f16 v56, v93, 0xbbdd, -v56
	v_add_f16_e32 v132, v3, v85
	v_add_f16_e32 v119, v119, v128
	v_fma_f16 v128, v14, 0x39e9, -v76
	v_add_f16_e32 v123, v2, v123
	v_add_f16_e32 v64, v64, v74
	v_fma_f16 v74, v16, 0x3722, -v148
	v_mul_f16_e32 v125, 0x31e1, v10
	v_mul_f16_e32 v111, 0xb5c8, v10
	v_fmamk_f16 v116, v82, 0xb8d2, v107
	v_mul_f16_e32 v105, 0xbbf7, v147
	v_mul_f16_e32 v156, 0xba62, v152
	v_fmamk_f16 v134, v91, 0x3b76, v57
	v_mul_f16_e32 v136, 0xb1e1, v152
	v_fma_f16 v57, v91, 0x3b76, -v57
	v_add_f16_e32 v103, v132, v103
	v_add_f16_e32 v127, v3, v133
	;; [unrolled: 1-line block ×3, first 2 shown]
	v_fma_f16 v133, v16, 0x39e9, -v108
	v_add_f16_e32 v123, v123, v128
	v_fma_f16 v128, v14, 0xb8d2, -v145
	v_add_f16_e32 v74, v2, v74
	v_lshrrev_b32_e32 v83, 16, v62
	v_fmac_f16_e32 v25, v71, v87
	v_sub_f16_e32 v9, v38, v23
	v_fma_f16 v24, v70, v55, -v49
	v_sub_f16_e32 v144, v46, v22
	v_mul_f16_e32 v58, 0xb836, v10
	v_fmamk_f16 v124, v82, 0xbbdd, v125
	v_fmamk_f16 v129, v82, 0x3b76, v111
	v_mul_f16_e32 v157, 0x3bb2, v147
	v_mul_f16_e32 v137, 0x35c8, v147
	v_add_f16_e32 v56, v56, v57
	v_fma_f16 v57, v14, 0x2de8, -v105
	v_add_f16_e32 v133, v2, v133
	v_add_f16_e32 v116, v103, v116
	v_fma_f16 v103, v16, 0xb8d2, -v156
	v_add_f16_e32 v74, v74, v128
	v_fma_f16 v128, v16, 0xbbdd, -v136
	v_mul_f16_e32 v31, v12, v62
	v_fmac_f16_e32 v27, v72, v86
	v_mul_f16_e32 v12, v12, v83
	v_sub_f16_e32 v8, v35, v25
	v_fma_f16 v26, v71, v66, -v75
	v_add_f16_e32 v13, v39, v21
	v_mul_f16_e32 v77, 0xbbf7, v9
	v_add_f16_e32 v78, v45, v24
	v_sub_f16_e32 v138, v45, v24
	v_mul_f16_e32 v106, 0xb1e1, v9
	v_mul_f16_e32 v75, 0xbb29, v144
	;; [unrolled: 1-line block ×3, first 2 shown]
	v_fmamk_f16 v139, v82, 0xbacd, v58
	v_fma_f16 v58, v82, 0xbacd, -v58
	v_mul_f16_e32 v135, 0x31e1, v144
	v_add_f16_e32 v57, v133, v57
	v_add_f16_e32 v65, v65, v124
	v_fma_f16 v124, v14, 0xb461, -v157
	v_add_f16_e32 v133, v2, v103
	v_add_f16_e32 v119, v119, v129
	v_fma_f16 v129, v14, 0x3b76, -v137
	v_add_f16_e32 v128, v2, v128
	v_fmac_f16_e32 v31, v37, v83
	v_fma_f16 v37, v37, v62, -v12
	v_add_f16_e32 v12, v38, v23
	v_sub_f16_e32 v49, v34, v27
	v_mul_f16_e32 v70, 0xbbb2, v8
	v_add_f16_e32 v71, v44, v26
	v_mul_f16_e32 v104, 0x3836, v8
	v_mul_f16_e32 v121, 0x3bb2, v9
	;; [unrolled: 1-line block ×3, first 2 shown]
	v_sub_f16_e32 v142, v44, v26
	v_fmamk_f16 v87, v78, 0x2de8, v77
	v_fmamk_f16 v117, v78, 0xbbdd, v106
	v_mul_f16_e32 v159, 0xb5c8, v144
	v_mul_f16_e32 v160, 0xb836, v144
	v_mul_f16_e32 v84, 0xbbf7, v138
	v_mul_f16_e32 v101, 0xb1e1, v138
	v_mul_f16_e32 v141, 0x3bb2, v138
	v_add_f16_e32 v124, v133, v124
	v_fmac_f16_e32 v136, 0xbbdd, v16
	v_fma_f16 v133, v13, 0x3722, -v75
	v_add_f16_e32 v128, v128, v129
	v_fma_f16 v129, v13, 0xb8d2, -v98
	v_add_f16_e32 v56, v56, v58
	;; [unrolled: 2-line block ×3, first 2 shown]
	v_sub_f16_e32 v51, v32, v28
	v_mul_f16_e32 v122, 0xb836, v9
	v_mul_f16_e32 v60, 0xba62, v8
	;; [unrolled: 1-line block ×3, first 2 shown]
	v_add_f16_e32 v73, v43, v30
	v_mul_f16_e32 v102, 0x3bb2, v49
	v_sub_f16_e32 v143, v43, v30
	v_fmamk_f16 v115, v71, 0xb461, v70
	v_fmamk_f16 v140, v78, 0xb461, v121
	;; [unrolled: 1-line block ×3, first 2 shown]
	v_fma_f16 v59, v78, 0x39e9, -v59
	v_fmamk_f16 v162, v71, 0xbacd, v104
	v_mul_f16_e32 v165, 0xb836, v138
	v_mul_f16_e32 v167, 0x3964, v138
	;; [unrolled: 1-line block ×5, first 2 shown]
	v_add_f16_e32 v127, v127, v134
	v_fmac_f16_e32 v137, 0x3b76, v14
	v_add_f16_e32 v134, v2, v136
	v_fma_f16 v136, v13, 0x3b76, -v159
	v_add_f16_e32 v64, v64, v87
	v_fma_f16 v87, v13, 0xbacd, -v160
	;; [unrolled: 2-line block ×5, first 2 shown]
	v_add_f16_e32 v58, v74, v58
	v_add_f16_e32 v52, v34, v27
	v_sub_f16_e32 v53, v31, v29
	v_mul_f16_e32 v118, 0x3964, v8
	v_mul_f16_e32 v61, 0x3b29, v49
	;; [unrolled: 1-line block ×3, first 2 shown]
	v_add_f16_e32 v69, v40, v33
	v_mul_f16_e32 v89, 0x3b29, v51
	v_sub_f16_e32 v131, v40, v33
	v_fmamk_f16 v158, v78, 0xbacd, v122
	v_fmamk_f16 v166, v71, 0xb8d2, v60
	v_fma_f16 v60, v71, 0xb8d2, -v60
	v_fmamk_f16 v168, v73, 0xb8d2, v72
	v_fmamk_f16 v169, v73, 0xb461, v102
	v_mul_f16_e32 v172, 0x3bf7, v142
	v_mul_f16_e32 v174, 0xba62, v142
	;; [unrolled: 1-line block ×5, first 2 shown]
	v_add_f16_e32 v127, v127, v139
	v_add_f16_e32 v134, v134, v137
	;; [unrolled: 1-line block ×3, first 2 shown]
	v_fma_f16 v137, v12, 0xbacd, -v165
	v_fma_f16 v74, v12, 0x39e9, -v167
	;; [unrolled: 1-line block ×3, first 2 shown]
	v_add_f16_e32 v124, v124, v136
	v_fma_f16 v136, v50, 0xbacd, -v99
	v_fma_f16 v140, v50, 0x39e9, -v146
	v_add_f16_e32 v87, v128, v87
	v_add_f16_e32 v56, v56, v59
	;; [unrolled: 1-line block ×8, first 2 shown]
	v_mul_f16_e32 v151, 0x3bf7, v8
	v_mul_f16_e32 v114, 0xb5c8, v49
	;; [unrolled: 1-line block ×4, first 2 shown]
	v_add_f16_e32 v67, v37, v36
	v_mul_f16_e32 v88, 0x35c8, v53
	v_sub_f16_e32 v120, v37, v36
	v_fmamk_f16 v163, v71, 0x39e9, v118
	v_fmamk_f16 v173, v73, 0x3722, v61
	v_fma_f16 v61, v73, 0x3722, -v61
	v_fmamk_f16 v175, v69, 0xbacd, v68
	v_fmamk_f16 v176, v69, 0x3722, v89
	v_mul_f16_e32 v179, 0xb964, v143
	v_mul_f16_e32 v181, 0x3b29, v143
	;; [unrolled: 1-line block ×5, first 2 shown]
	v_add_f16_e32 v119, v119, v158
	v_add_f16_e32 v127, v127, v161
	v_fma_f16 v128, v50, 0x2de8, -v172
	v_fma_f16 v59, v50, 0xb8d2, -v174
	;; [unrolled: 1-line block ×5, first 2 shown]
	v_add_f16_e32 v124, v124, v137
	v_add_f16_e32 v74, v87, v74
	;; [unrolled: 1-line block ×9, first 2 shown]
	v_mul_f16_e32 v153, 0xb964, v49
	v_mul_f16_e32 v113, 0xbbf7, v51
	v_fmamk_f16 v164, v71, 0x2de8, v151
	v_fmamk_f16 v170, v73, 0x3b76, v114
	;; [unrolled: 1-line block ×3, first 2 shown]
	v_fma_f16 v62, v69, 0xb461, -v62
	v_fmamk_f16 v182, v67, 0xbbdd, v66
	v_fmamk_f16 v183, v67, 0x3b76, v88
	v_mul_f16_e32 v185, 0xb1e1, v131
	v_mul_f16_e32 v188, 0xbbb2, v131
	v_mul_f16_e32 v85, 0xb1e1, v120
	v_mul_f16_e32 v94, 0x35c8, v120
	v_mul_f16_e32 v132, 0xb836, v120
	v_fma_f16 v117, v52, 0x39e9, -v179
	v_add_f16_e32 v65, v65, v163
	v_fma_f16 v161, v52, 0x3722, -v181
	v_fma_f16 v129, v54, 0xbacd, -v83
	;; [unrolled: 1-line block ×4, first 2 shown]
	v_add_f16_e32 v127, v127, v166
	v_add_f16_e32 v124, v124, v128
	;; [unrolled: 1-line block ×9, first 2 shown]
	v_mul_f16_e32 v154, 0xb1e1, v51
	v_mul_f16_e32 v112, 0xb836, v53
	;; [unrolled: 1-line block ×3, first 2 shown]
	v_fmamk_f16 v171, v73, 0x39e9, v153
	v_fmamk_f16 v177, v69, 0x2de8, v113
	v_mul_f16_e32 v189, 0x3b29, v120
	v_mul_f16_e32 v103, 0xbacd, v93
	v_add_f16_e32 v119, v119, v164
	v_fma_f16 v163, v54, 0xbbdd, -v185
	v_fma_f16 v87, v54, 0xb461, -v188
	v_fma_f16 v60, v55, 0xbbdd, -v85
	v_fma_f16 v164, v55, 0x3b76, -v94
	v_fma_f16 v139, v55, 0xbacd, -v132
	v_fmac_f16_e32 v160, 0xbacd, v13
	v_add_f16_e32 v65, v65, v170
	v_add_f16_e32 v127, v127, v173
	;; [unrolled: 1-line block ×10, first 2 shown]
	v_mul_f16_e32 v155, 0x3b29, v53
	v_fmamk_f16 v178, v69, 0xbbdd, v154
	v_fmamk_f16 v184, v67, 0xbacd, v112
	;; [unrolled: 1-line block ×3, first 2 shown]
	v_fma_f16 v63, v67, 0x2de8, -v63
	v_fma_f16 v166, v55, 0x3722, -v189
	v_add_f16_e32 v119, v119, v171
	v_add_f16_e32 v65, v65, v177
	;; [unrolled: 1-line block ×8, first 2 shown]
	v_fmamk_f16 v74, v15, 0x3836, v103
	v_mul_f16_e32 v127, 0x3722, v91
	v_add_f16_e32 v115, v134, v160
	v_fmac_f16_e32 v167, 0x39e9, v12
	v_fmamk_f16 v186, v67, 0x3722, v155
	v_add_f16_e32 v119, v119, v178
	v_add_f16_e32 v58, v65, v184
	;; [unrolled: 1-line block ×5, first 2 shown]
	v_mul_f16_e32 v124, 0x3bf7, v120
	v_add_f16_e32 v74, v3, v74
	v_fmamk_f16 v116, v11, 0xbb29, v127
	v_mul_f16_e32 v123, 0x2de8, v82
	v_add_f16_e32 v115, v115, v167
	v_fmac_f16_e32 v174, 0xb8d2, v50
	v_add_f16_e32 v62, v119, v186
	v_fma_f16 v117, v55, 0x2de8, -v124
	v_add_f16_e32 v119, v74, v116
	v_fmamk_f16 v128, v10, 0x3bf7, v123
	v_mul_f16_e32 v116, 0xb8d2, v78
	v_add_f16_e32 v129, v115, v174
	v_fmac_f16_e32 v181, 0x3722, v52
	v_add_f16_e32 v74, v87, v117
	v_add_f16_e32 v87, v119, v128
	v_fmamk_f16 v117, v9, 0xba62, v116
	v_mul_f16_e32 v115, 0x3b76, v71
	v_add_f16_e32 v128, v129, v181
	v_fmac_f16_e32 v188, 0xb461, v54
	v_mul_f16_e32 v136, 0xb836, v152
	v_add_f16_e32 v87, v87, v117
	v_fmamk_f16 v117, v8, 0x35c8, v115
	v_mul_f16_e32 v119, 0xbbdd, v73
	v_add_f16_e32 v133, v128, v188
	v_fmamk_f16 v128, v16, 0xbacd, v136
	;; [unrolled: 3-line block ×4, first 2 shown]
	v_mul_f16_e32 v128, 0xbbf7, v144
	v_fmac_f16_e32 v124, 0x2de8, v55
	v_add_f16_e32 v140, v87, v129
	v_fmamk_f16 v158, v51, 0xb964, v117
	v_add_f16_e32 v134, v134, v137
	v_fmamk_f16 v137, v13, 0x2de8, v128
	v_mul_f16_e32 v129, 0x3a62, v138
	v_fma_f16 v95, v93, 0xb8d2, -v95
	v_add_f16_e32 v41, v2, v41
	v_add_f16_e32 v87, v133, v124
	;; [unrolled: 1-line block ×4, first 2 shown]
	v_fmamk_f16 v137, v12, 0xb8d2, v129
	v_mul_f16_e32 v140, 0xb5c8, v142
	v_add_f16_e32 v95, v3, v95
	v_fma_f16 v100, v91, 0xb461, -v100
	v_add_f16_e32 v41, v41, v42
	v_mul_f16_e32 v124, 0xb461, v67
	v_add_f16_e32 v134, v134, v137
	v_fmamk_f16 v158, v50, 0x3b76, v140
	v_mul_f16_e32 v137, 0xb1e1, v143
	v_add_f16_e32 v100, v95, v100
	v_fma_f16 v111, v82, 0x3b76, -v111
	v_add_f16_e32 v39, v41, v39
	v_fmamk_f16 v160, v53, 0x3bb2, v124
	v_add_f16_e32 v158, v134, v158
	v_fmamk_f16 v161, v52, 0xbbdd, v137
	v_mul_f16_e32 v134, 0x3964, v131
	v_add_f16_e32 v100, v100, v111
	v_fma_f16 v111, v78, 0xbacd, -v122
	v_add_f16_e32 v38, v39, v38
	v_add_f16_e32 v39, v48, v3
	;; [unrolled: 1-line block ×4, first 2 shown]
	v_fmamk_f16 v158, v54, 0x39e9, v134
	v_mul_f16_e32 v133, 0xbbb2, v120
	v_fmac_f16_e32 v156, 0xb8d2, v16
	v_add_f16_e32 v100, v100, v111
	v_fma_f16 v111, v71, 0x2de8, -v151
	v_add_f16_e32 v35, v38, v35
	v_add_f16_e32 v38, v39, v47
	;; [unrolled: 1-line block ×3, first 2 shown]
	v_fmamk_f16 v151, v55, 0xb461, v133
	v_add_f16_e32 v156, v2, v156
	v_fmac_f16_e32 v157, 0xb461, v14
	v_add_f16_e32 v111, v100, v111
	v_fma_f16 v153, v73, 0x39e9, -v153
	v_mul_f16_e32 v164, 0xb461, v93
	v_add_f16_e32 v34, v35, v34
	v_add_f16_e32 v35, v38, v46
	v_fmac_f16_e32 v79, 0x3b76, v16
	v_add_f16_e32 v100, v122, v151
	v_add_f16_e32 v122, v156, v157
	v_fmac_f16_e32 v159, 0x3b76, v13
	v_add_f16_e32 v111, v111, v153
	v_fma_f16 v151, v69, 0xbbdd, -v154
	v_fmamk_f16 v153, v15, 0x3bb2, v164
	v_mul_f16_e32 v166, 0xbacd, v91
	v_add_f16_e32 v32, v34, v32
	v_add_f16_e32 v34, v35, v45
	v_add_f16_e32 v35, v2, v79
	v_fmac_f16_e32 v76, 0x39e9, v14
	v_add_f16_e32 v122, v122, v159
	v_fmac_f16_e32 v165, 0xbacd, v12
	v_add_f16_e32 v111, v111, v151
	v_add_f16_e32 v151, v3, v153
	v_fmamk_f16 v153, v11, 0xb836, v166
	v_mul_f16_e32 v167, 0x39e9, v82
	v_fma_f16 v154, v67, 0x3722, -v155
	v_mul_f16_e32 v169, 0xbbb2, v152
	v_add_f16_e32 v31, v32, v31
	v_add_f16_e32 v32, v34, v44
	;; [unrolled: 1-line block ×3, first 2 shown]
	v_fmac_f16_e32 v75, 0x3722, v13
	v_add_f16_e32 v122, v122, v165
	v_add_f16_e32 v151, v151, v153
	v_fmamk_f16 v153, v10, 0xb964, v167
	v_mul_f16_e32 v165, 0x3722, v78
	v_add_f16_e32 v111, v111, v154
	v_fmamk_f16 v154, v16, 0xb461, v169
	v_mul_f16_e32 v171, 0x3836, v147
	v_add_f16_e32 v29, v31, v29
	v_add_f16_e32 v31, v32, v43
	;; [unrolled: 1-line block ×3, first 2 shown]
	v_fmac_f16_e32 v84, 0x2de8, v12
	v_add_f16_e32 v151, v151, v153
	v_fmamk_f16 v153, v9, 0x3b29, v165
	v_mul_f16_e32 v168, 0xbbdd, v71
	v_add_f16_e32 v155, v2, v154
	v_fmamk_f16 v156, v14, 0xbacd, v171
	v_mul_f16_e32 v154, 0x3964, v144
	v_add_f16_e32 v28, v28, v29
	v_add_f16_e32 v29, v31, v40
	;; [unrolled: 1-line block ×3, first 2 shown]
	v_fmac_f16_e32 v86, 0xb461, v50
	v_fmac_f16_e32 v172, 0x2de8, v50
	v_add_f16_e32 v151, v151, v153
	v_fmamk_f16 v153, v8, 0x31e1, v168
	v_mul_f16_e32 v170, 0x2de8, v73
	v_add_f16_e32 v156, v155, v156
	v_fmamk_f16 v157, v13, 0x39e9, v154
	v_mul_f16_e32 v155, 0xbb29, v138
	v_mul_f16_e32 v159, 0x2de8, v93
	v_add_f16_e32 v27, v27, v28
	v_add_f16_e32 v28, v29, v37
	;; [unrolled: 1-line block ×3, first 2 shown]
	v_fmac_f16_e32 v81, 0xb8d2, v52
	v_add_f16_e32 v122, v122, v172
	v_add_f16_e32 v151, v151, v153
	v_fmamk_f16 v153, v49, 0xbbf7, v170
	v_mul_f16_e32 v172, 0x3b76, v69
	v_add_f16_e32 v157, v156, v157
	v_fmamk_f16 v158, v12, 0x3722, v155
	v_mul_f16_e32 v156, 0xb1e1, v142
	v_fmamk_f16 v161, v15, 0x3bf7, v159
	v_mul_f16_e32 v160, 0xbbdd, v91
	v_add_f16_e32 v25, v25, v27
	v_add_f16_e32 v27, v28, v36
	v_fmac_f16_e32 v103, 0xb836, v15
	v_add_f16_e32 v28, v29, v81
	v_fmac_f16_e32 v83, 0xbacd, v54
	v_add_f16_e32 v151, v151, v153
	v_fmamk_f16 v153, v51, 0x35c8, v172
	v_add_f16_e32 v158, v157, v158
	v_fmamk_f16 v162, v50, 0xbbdd, v156
	v_mul_f16_e32 v157, 0x3bf7, v143
	v_add_f16_e32 v163, v3, v161
	v_fmamk_f16 v173, v11, 0x31e1, v160
	v_mul_f16_e32 v161, 0xb461, v82
	v_add_f16_e32 v23, v23, v25
	v_add_f16_e32 v25, v33, v27
	;; [unrolled: 1-line block ×3, first 2 shown]
	v_fmac_f16_e32 v127, 0x3b29, v11
	v_add_f16_e32 v28, v28, v83
	v_fmac_f16_e32 v85, 0xbbdd, v55
	v_add_f16_e32 v151, v151, v153
	v_mul_f16_e32 v153, 0xb8d2, v67
	v_add_f16_e32 v174, v158, v162
	v_fmamk_f16 v175, v52, 0x2de8, v157
	v_mul_f16_e32 v158, 0xb5c8, v131
	v_add_f16_e32 v163, v163, v173
	v_fmamk_f16 v173, v10, 0xbbb2, v161
	v_mul_f16_e32 v162, 0x3b76, v78
	v_add_f16_e32 v21, v21, v23
	v_add_f16_e32 v23, v30, v25
	;; [unrolled: 1-line block ×3, first 2 shown]
	v_fmac_f16_e32 v123, 0xbbf7, v10
	v_add_f16_e32 v27, v28, v85
	v_fma_f16 v28, v16, 0xbacd, -v136
	v_fmamk_f16 v176, v53, 0x3a62, v153
	v_add_f16_e32 v174, v174, v175
	v_fmamk_f16 v175, v54, 0x3b76, v158
	v_add_f16_e32 v173, v163, v173
	v_fmamk_f16 v177, v9, 0xb5c8, v162
	v_mul_f16_e32 v163, 0x3722, v71
	v_mul_f16_e32 v152, 0xbbf7, v152
	v_add_f16_e32 v18, v18, v21
	v_add_f16_e32 v21, v26, v23
	v_add_f16_e32 v23, v25, v123
	v_fmac_f16_e32 v116, 0x3a62, v9
	v_add_f16_e32 v25, v2, v28
	v_fma_f16 v26, v14, 0x3722, -v139
	v_fmac_f16_e32 v179, 0x39e9, v52
	v_add_f16_e32 v151, v151, v176
	v_add_f16_e32 v174, v174, v175
	;; [unrolled: 1-line block ×3, first 2 shown]
	v_fmamk_f16 v175, v8, 0x3b29, v163
	v_mul_f16_e32 v176, 0xbacd, v73
	v_fmamk_f16 v178, v16, 0x2de8, v152
	v_mul_f16_e32 v147, 0xb1e1, v147
	v_add_f16_e32 v17, v17, v18
	v_add_f16_e32 v18, v24, v21
	;; [unrolled: 1-line block ×4, first 2 shown]
	v_fma_f16 v24, v13, 0x2de8, -v128
	v_add_f16_e32 v122, v122, v179
	v_mul_f16_e32 v177, 0xba62, v120
	v_add_f16_e32 v173, v173, v175
	v_fmamk_f16 v175, v49, 0x3836, v176
	v_mul_f16_e32 v179, 0xb8d2, v69
	v_add_f16_e32 v178, v2, v178
	v_fmamk_f16 v180, v14, 0xbbdd, v147
	v_mul_f16_e32 v144, 0x3bb2, v144
	v_add_f16_e32 v18, v22, v18
	v_add_f16_e32 v22, v23, v24
	v_fma_f16 v23, v12, 0xb8d2, -v129
	v_fmamk_f16 v181, v55, 0xb8d2, v177
	v_add_f16_e32 v173, v173, v175
	v_fmamk_f16 v175, v51, 0xba62, v179
	v_add_f16_e32 v178, v178, v180
	v_fmamk_f16 v180, v13, 0xb461, v144
	v_mul_f16_e32 v182, 0x35c8, v138
	v_add_f16_e32 v22, v22, v23
	v_fma_f16 v23, v50, 0x3b76, -v140
	v_add_f16_e32 v138, v174, v181
	v_add_f16_e32 v173, v173, v175
	v_fma_f16 v130, v93, 0x3722, -v130
	v_add_f16_e32 v174, v178, v180
	v_fmamk_f16 v175, v12, 0x3b76, v182
	v_mul_f16_e32 v142, 0xbb29, v142
	v_add_f16_e32 v18, v20, v18
	v_add_f16_e32 v22, v22, v23
	v_fma_f16 v23, v52, 0xbbdd, -v137
	v_add_f16_e32 v130, v3, v130
	v_fma_f16 v126, v91, 0xb8d2, -v126
	v_add_f16_e32 v174, v174, v175
	v_fmamk_f16 v175, v50, 0x3722, v142
	v_mul_f16_e32 v143, 0xb836, v143
	v_add_f16_e32 v18, v19, v18
	v_add_f16_e32 v19, v22, v23
	v_fma_f16 v22, v54, 0x39e9, -v134
	v_add_f16_e32 v126, v130, v126
	v_fma_f16 v125, v82, 0xbbdd, -v125
	v_add_f16_e32 v130, v174, v175
	v_fmamk_f16 v174, v52, 0xbacd, v143
	v_fmac_f16_e32 v148, 0x3722, v16
	v_fma_f16 v110, v93, 0x39e9, -v110
	v_fmac_f16_e32 v108, 0x39e9, v16
	v_fma_f16 v92, v93, 0x3b76, -v92
	v_fmac_f16_e32 v164, 0xbbb2, v15
	v_add_f16_e32 v19, v19, v22
	v_fma_f16 v22, v55, 0xb461, -v133
	v_fma_f16 v23, v16, 0xb461, -v169
	v_fmac_f16_e32 v159, 0xbbf7, v15
	v_fma_f16 v15, v16, 0x2de8, -v152
	v_add_f16_e32 v125, v126, v125
	v_add_f16_e32 v126, v130, v174
	v_add_f16_e32 v130, v2, v148
	v_add_f16_e32 v110, v3, v110
	v_fma_f16 v109, v91, 0x2de8, -v109
	v_add_f16_e32 v93, v2, v108
	v_fma_f16 v90, v91, 0x39e9, -v90
	v_add_f16_e32 v91, v3, v92
	v_add_f16_e32 v25, v3, v164
	v_fmac_f16_e32 v166, 0x3836, v11
	v_add_f16_e32 v19, v19, v22
	v_add_f16_e32 v22, v2, v23
	;; [unrolled: 1-line block ×3, first 2 shown]
	v_fmac_f16_e32 v160, 0xb1e1, v11
	v_add_f16_e32 v2, v2, v15
	v_fma_f16 v11, v14, 0xbbdd, -v147
	v_fmac_f16_e32 v105, 0x2de8, v14
	v_fmac_f16_e32 v167, 0x3964, v10
	v_add_f16_e32 v3, v3, v160
	v_fmac_f16_e32 v161, 0x3bb2, v10
	v_add_f16_e32 v2, v2, v11
	v_fma_f16 v10, v13, 0xb461, -v144
	v_fma_f16 v121, v78, 0xb461, -v121
	v_fmac_f16_e32 v145, 0xb8d2, v14
	v_add_f16_e32 v93, v93, v105
	v_fmac_f16_e32 v98, 0xb8d2, v13
	v_add_f16_e32 v90, v91, v90
	v_fma_f16 v80, v82, 0x3722, -v80
	v_fmac_f16_e32 v165, 0xbb29, v9
	v_add_f16_e32 v3, v3, v161
	v_fmac_f16_e32 v162, 0x35c8, v9
	v_add_f16_e32 v2, v2, v10
	v_fma_f16 v9, v12, 0x3b76, -v182
	v_add_f16_e32 v109, v110, v109
	v_fma_f16 v107, v82, 0xb8d2, -v107
	;; [unrolled: 2-line block ×3, first 2 shown]
	v_add_f16_e32 v130, v130, v145
	v_fmac_f16_e32 v135, 0xbbdd, v13
	v_add_f16_e32 v42, v93, v98
	v_fmac_f16_e32 v101, 0xbbdd, v12
	v_add_f16_e32 v80, v90, v80
	v_fma_f16 v77, v78, 0x2de8, -v77
	v_fma_f16 v23, v14, 0xbacd, -v171
	v_fmac_f16_e32 v115, 0xb5c8, v8
	v_fmac_f16_e32 v168, 0xb1e1, v8
	v_add_f16_e32 v3, v3, v162
	v_fmac_f16_e32 v163, 0xbb29, v8
	v_add_f16_e32 v2, v2, v9
	v_fma_f16 v8, v50, 0x3722, -v142
	v_add_f16_e32 v107, v109, v107
	v_fma_f16 v106, v78, 0xbbdd, -v106
	;; [unrolled: 2-line block ×3, first 2 shown]
	v_add_f16_e32 v121, v130, v135
	v_fmac_f16_e32 v141, 0xb461, v12
	v_add_f16_e32 v42, v42, v101
	v_add_f16_e32 v77, v80, v77
	v_fmac_f16_e32 v99, 0xbacd, v50
	v_fma_f16 v48, v71, 0xb461, -v70
	v_add_f16_e32 v16, v22, v23
	v_fma_f16 v22, v13, 0x39e9, -v154
	v_mul_f16_e32 v131, 0x3a62, v131
	v_add_f16_e32 v3, v3, v163
	v_fmac_f16_e32 v176, 0xb836, v49
	v_add_f16_e32 v2, v2, v8
	v_fma_f16 v8, v52, 0xbacd, -v143
	v_add_f16_e32 v106, v107, v106
	v_fma_f16 v104, v71, 0xbacd, -v104
	v_add_f16_e32 v24, v25, v166
	v_add_f16_e32 v114, v118, v114
	;; [unrolled: 1-line block ×3, first 2 shown]
	v_fmac_f16_e32 v146, 0x39e9, v50
	v_add_f16_e32 v39, v42, v99
	v_add_f16_e32 v42, v77, v48
	v_fma_f16 v38, v73, 0xb8d2, -v72
	v_add_f16_e32 v14, v16, v22
	v_fma_f16 v15, v12, 0x3722, -v155
	v_add_f16_e32 v3, v3, v176
	v_fmac_f16_e32 v179, 0x3a62, v51
	v_add_f16_e32 v2, v2, v8
	v_fma_f16 v8, v54, 0xb8d2, -v131
	v_add_f16_e32 v104, v106, v104
	v_fma_f16 v102, v73, 0xb461, -v102
	v_fmac_f16_e32 v97, 0xb461, v52
	v_add_f16_e32 v20, v24, v167
	v_fma_f16 v113, v69, 0x2de8, -v113
	v_add_f16_e32 v118, v118, v146
	v_fmac_f16_e32 v149, 0x3b76, v52
	v_add_f16_e32 v38, v42, v38
	v_fma_f16 v35, v69, 0xbacd, -v68
	v_add_f16_e32 v11, v14, v15
	v_fma_f16 v13, v50, 0xbbdd, -v156
	v_add_f16_e32 v12, v3, v179
	v_add_f16_e32 v8, v2, v8
	v_lshlrev_b64 v[2:3], 2, v[4:5]
	v_add_co_u32 v4, vcc_lo, s10, v0
	v_add_f16_e32 v92, v104, v102
	v_fma_f16 v82, v69, 0x3722, -v89
	v_add_f16_e32 v39, v39, v97
	v_fmac_f16_e32 v96, 0x3722, v54
	v_add_f16_e32 v20, v20, v165
	v_add_f16_e32 v113, v114, v113
	v_fma_f16 v109, v67, 0xbacd, -v112
	v_add_f16_e32 v112, v118, v149
	v_fmac_f16_e32 v150, 0x2de8, v54
	v_add_co_ci_u32_e32 v5, vcc_lo, s11, v1, vcc_lo
	v_mul_f16_e32 v178, 0x39e9, v67
	v_fmamk_f16 v148, v54, 0xb8d2, v131
	v_mul_f16_e32 v120, 0x3964, v120
	v_add_f16_e32 v34, v38, v35
	v_fma_f16 v32, v67, 0xbbdd, -v66
	v_add_f16_e32 v10, v11, v13
	v_fma_f16 v11, v52, 0x2de8, -v157
	v_add_f16_e32 v21, v21, v115
	v_fmac_f16_e32 v119, 0xb1e1, v49
	v_lshlrev_b64 v[0:1], 2, v[6:7]
	v_fmac_f16_e32 v185, 0xbbdd, v54
	v_add_co_u32 v2, vcc_lo, v4, v2
	v_add_f16_e32 v41, v92, v82
	v_fma_f16 v78, v67, 0x3b76, -v88
	v_add_f16_e32 v39, v39, v96
	v_fmac_f16_e32 v94, 0x3b76, v55
	v_add_f16_e32 v20, v20, v168
	v_fmac_f16_e32 v170, 0x3bf7, v49
	v_add_f16_e32 v107, v113, v109
	v_add_f16_e32 v109, v112, v150
	v_fmac_f16_e32 v132, 0xbacd, v55
	v_add_co_ci_u32_e32 v3, vcc_lo, v5, v3, vcc_lo
	v_fmamk_f16 v180, v53, 0xb964, v178
	v_add_f16_e32 v126, v126, v148
	v_fmamk_f16 v110, v55, 0x39e9, v120
	v_add_f16_e32 v31, v34, v32
	v_add_f16_e32 v9, v10, v11
	v_fma_f16 v10, v54, 0x3b76, -v158
	v_add_f16_e32 v21, v21, v119
	v_fmac_f16_e32 v117, 0x3964, v51
	v_add_f16_e32 v122, v122, v185
	v_fmac_f16_e32 v189, 0x3722, v55
	v_add_co_u32 v0, vcc_lo, v2, v0
	v_add_f16_e32 v41, v41, v78
	v_add_f16_e32 v35, v39, v94
	;; [unrolled: 1-line block ×3, first 2 shown]
	v_fmac_f16_e32 v172, 0xb5c8, v51
	v_fma_f16 v4, v55, 0x39e9, -v120
	v_add_f16_e32 v106, v109, v132
	v_add_co_ci_u32_e32 v1, vcc_lo, v3, v1, vcc_lo
	v_pack_b32_f16 v2, v17, v18
	v_add_f16_e32 v125, v173, v180
	v_add_f16_e32 v110, v126, v110
	;; [unrolled: 1-line block ×3, first 2 shown]
	v_fma_f16 v10, v55, 0xb8d2, -v177
	v_pack_b32_f16 v3, v27, v31
	v_add_f16_e32 v21, v21, v117
	v_fmac_f16_e32 v124, 0xbbb2, v53
	v_add_f16_e32 v122, v122, v189
	v_fmac_f16_e32 v178, 0x3964, v53
	;; [unrolled: 2-line block ×3, first 2 shown]
	v_add_f16_e32 v8, v8, v4
	v_pack_b32_f16 v4, v35, v41
	global_store_dword v[0:1], v2, off
	global_store_dword v[0:1], v3, off offset:476
	v_pack_b32_f16 v5, v106, v107
	v_add_co_u32 v2, vcc_lo, 0x800, v0
	v_add_f16_e32 v6, v9, v10
	v_pack_b32_f16 v9, v110, v125
	v_add_f16_e32 v21, v21, v124
	v_pack_b32_f16 v10, v138, v151
	v_add_co_ci_u32_e32 v3, vcc_lo, 0, v1, vcc_lo
	v_add_f16_e32 v7, v12, v178
	v_pack_b32_f16 v12, v122, v111
	v_add_f16_e32 v11, v20, v153
	global_store_dword v[0:1], v4, off offset:952
	global_store_dword v[0:1], v5, off offset:1428
	;; [unrolled: 1-line block ×5, first 2 shown]
	v_pack_b32_f16 v9, v100, v95
	v_add_co_u32 v4, vcc_lo, 0x1000, v0
	v_pack_b32_f16 v10, v87, v65
	v_pack_b32_f16 v12, v74, v64
	v_add_co_ci_u32_e32 v5, vcc_lo, 0, v1, vcc_lo
	v_pack_b32_f16 v13, v19, v21
	v_pack_b32_f16 v14, v63, v62
	v_add_co_u32 v0, vcc_lo, 0x1800, v0
	global_store_dword v[2:3], v9, off offset:1284
	global_store_dword v[2:3], v10, off offset:1760
	;; [unrolled: 1-line block ×5, first 2 shown]
	v_pack_b32_f16 v2, v6, v11
	v_pack_b32_f16 v3, v8, v7
	v_add_co_ci_u32_e32 v1, vcc_lo, 0, v1, vcc_lo
	v_pack_b32_f16 v6, v61, v58
	v_pack_b32_f16 v7, v60, v57
	;; [unrolled: 1-line block ×3, first 2 shown]
	global_store_dword v[4:5], v2, off offset:1616
	global_store_dword v[0:1], v3, off offset:44
	;; [unrolled: 1-line block ×5, first 2 shown]
.LBB0_23:
	s_endpgm
	.section	.rodata,"a",@progbits
	.p2align	6, 0x0
	.amdhsa_kernel fft_rtc_back_len2023_factors_17_7_17_wgs_119_tpt_119_halfLds_half_op_CI_CI_unitstride_sbrr_dirReg
		.amdhsa_group_segment_fixed_size 0
		.amdhsa_private_segment_fixed_size 0
		.amdhsa_kernarg_size 104
		.amdhsa_user_sgpr_count 6
		.amdhsa_user_sgpr_private_segment_buffer 1
		.amdhsa_user_sgpr_dispatch_ptr 0
		.amdhsa_user_sgpr_queue_ptr 0
		.amdhsa_user_sgpr_kernarg_segment_ptr 1
		.amdhsa_user_sgpr_dispatch_id 0
		.amdhsa_user_sgpr_flat_scratch_init 0
		.amdhsa_user_sgpr_private_segment_size 0
		.amdhsa_wavefront_size32 1
		.amdhsa_uses_dynamic_stack 0
		.amdhsa_system_sgpr_private_segment_wavefront_offset 0
		.amdhsa_system_sgpr_workgroup_id_x 1
		.amdhsa_system_sgpr_workgroup_id_y 0
		.amdhsa_system_sgpr_workgroup_id_z 0
		.amdhsa_system_sgpr_workgroup_info 0
		.amdhsa_system_vgpr_workitem_id 0
		.amdhsa_next_free_vgpr 190
		.amdhsa_next_free_sgpr 27
		.amdhsa_reserve_vcc 1
		.amdhsa_reserve_flat_scratch 0
		.amdhsa_float_round_mode_32 0
		.amdhsa_float_round_mode_16_64 0
		.amdhsa_float_denorm_mode_32 3
		.amdhsa_float_denorm_mode_16_64 3
		.amdhsa_dx10_clamp 1
		.amdhsa_ieee_mode 1
		.amdhsa_fp16_overflow 0
		.amdhsa_workgroup_processor_mode 1
		.amdhsa_memory_ordered 1
		.amdhsa_forward_progress 0
		.amdhsa_shared_vgpr_count 0
		.amdhsa_exception_fp_ieee_invalid_op 0
		.amdhsa_exception_fp_denorm_src 0
		.amdhsa_exception_fp_ieee_div_zero 0
		.amdhsa_exception_fp_ieee_overflow 0
		.amdhsa_exception_fp_ieee_underflow 0
		.amdhsa_exception_fp_ieee_inexact 0
		.amdhsa_exception_int_div_zero 0
	.end_amdhsa_kernel
	.text
.Lfunc_end0:
	.size	fft_rtc_back_len2023_factors_17_7_17_wgs_119_tpt_119_halfLds_half_op_CI_CI_unitstride_sbrr_dirReg, .Lfunc_end0-fft_rtc_back_len2023_factors_17_7_17_wgs_119_tpt_119_halfLds_half_op_CI_CI_unitstride_sbrr_dirReg
                                        ; -- End function
	.section	.AMDGPU.csdata,"",@progbits
; Kernel info:
; codeLenInByte = 15364
; NumSgprs: 29
; NumVgprs: 190
; ScratchSize: 0
; MemoryBound: 0
; FloatMode: 240
; IeeeMode: 1
; LDSByteSize: 0 bytes/workgroup (compile time only)
; SGPRBlocks: 3
; VGPRBlocks: 23
; NumSGPRsForWavesPerEU: 29
; NumVGPRsForWavesPerEU: 190
; Occupancy: 5
; WaveLimiterHint : 1
; COMPUTE_PGM_RSRC2:SCRATCH_EN: 0
; COMPUTE_PGM_RSRC2:USER_SGPR: 6
; COMPUTE_PGM_RSRC2:TRAP_HANDLER: 0
; COMPUTE_PGM_RSRC2:TGID_X_EN: 1
; COMPUTE_PGM_RSRC2:TGID_Y_EN: 0
; COMPUTE_PGM_RSRC2:TGID_Z_EN: 0
; COMPUTE_PGM_RSRC2:TIDIG_COMP_CNT: 0
	.text
	.p2alignl 6, 3214868480
	.fill 48, 4, 3214868480
	.type	__hip_cuid_5650d5ecaef7c52c,@object ; @__hip_cuid_5650d5ecaef7c52c
	.section	.bss,"aw",@nobits
	.globl	__hip_cuid_5650d5ecaef7c52c
__hip_cuid_5650d5ecaef7c52c:
	.byte	0                               ; 0x0
	.size	__hip_cuid_5650d5ecaef7c52c, 1

	.ident	"AMD clang version 19.0.0git (https://github.com/RadeonOpenCompute/llvm-project roc-6.4.0 25133 c7fe45cf4b819c5991fe208aaa96edf142730f1d)"
	.section	".note.GNU-stack","",@progbits
	.addrsig
	.addrsig_sym __hip_cuid_5650d5ecaef7c52c
	.amdgpu_metadata
---
amdhsa.kernels:
  - .args:
      - .actual_access:  read_only
        .address_space:  global
        .offset:         0
        .size:           8
        .value_kind:     global_buffer
      - .offset:         8
        .size:           8
        .value_kind:     by_value
      - .actual_access:  read_only
        .address_space:  global
        .offset:         16
        .size:           8
        .value_kind:     global_buffer
      - .actual_access:  read_only
        .address_space:  global
        .offset:         24
        .size:           8
        .value_kind:     global_buffer
      - .actual_access:  read_only
        .address_space:  global
        .offset:         32
        .size:           8
        .value_kind:     global_buffer
      - .offset:         40
        .size:           8
        .value_kind:     by_value
      - .actual_access:  read_only
        .address_space:  global
        .offset:         48
        .size:           8
        .value_kind:     global_buffer
      - .actual_access:  read_only
        .address_space:  global
        .offset:         56
        .size:           8
        .value_kind:     global_buffer
      - .offset:         64
        .size:           4
        .value_kind:     by_value
      - .actual_access:  read_only
        .address_space:  global
        .offset:         72
        .size:           8
        .value_kind:     global_buffer
      - .actual_access:  read_only
        .address_space:  global
        .offset:         80
        .size:           8
        .value_kind:     global_buffer
      - .actual_access:  read_only
        .address_space:  global
        .offset:         88
        .size:           8
        .value_kind:     global_buffer
      - .actual_access:  write_only
        .address_space:  global
        .offset:         96
        .size:           8
        .value_kind:     global_buffer
    .group_segment_fixed_size: 0
    .kernarg_segment_align: 8
    .kernarg_segment_size: 104
    .language:       OpenCL C
    .language_version:
      - 2
      - 0
    .max_flat_workgroup_size: 119
    .name:           fft_rtc_back_len2023_factors_17_7_17_wgs_119_tpt_119_halfLds_half_op_CI_CI_unitstride_sbrr_dirReg
    .private_segment_fixed_size: 0
    .sgpr_count:     29
    .sgpr_spill_count: 0
    .symbol:         fft_rtc_back_len2023_factors_17_7_17_wgs_119_tpt_119_halfLds_half_op_CI_CI_unitstride_sbrr_dirReg.kd
    .uniform_work_group_size: 1
    .uses_dynamic_stack: false
    .vgpr_count:     190
    .vgpr_spill_count: 0
    .wavefront_size: 32
    .workgroup_processor_mode: 1
amdhsa.target:   amdgcn-amd-amdhsa--gfx1030
amdhsa.version:
  - 1
  - 2
...

	.end_amdgpu_metadata
